;; amdgpu-corpus repo=ROCm/rocFFT kind=compiled arch=gfx1030 opt=O3
	.text
	.amdgcn_target "amdgcn-amd-amdhsa--gfx1030"
	.amdhsa_code_object_version 6
	.protected	bluestein_single_back_len1008_dim1_half_op_CI_CI ; -- Begin function bluestein_single_back_len1008_dim1_half_op_CI_CI
	.globl	bluestein_single_back_len1008_dim1_half_op_CI_CI
	.p2align	8
	.type	bluestein_single_back_len1008_dim1_half_op_CI_CI,@function
bluestein_single_back_len1008_dim1_half_op_CI_CI: ; @bluestein_single_back_len1008_dim1_half_op_CI_CI
; %bb.0:
	s_load_dwordx4 s[16:19], s[4:5], 0x28
	v_mul_u32_u24_e32 v1, 0x493, v0
	v_mov_b32_e32 v13, 0
	s_mov_b32 s0, exec_lo
	v_lshrrev_b32_e32 v1, 16, v1
	v_add_nc_u32_e32 v12, s6, v1
	s_waitcnt lgkmcnt(0)
	v_cmpx_gt_u64_e64 s[16:17], v[12:13]
	s_cbranch_execz .LBB0_10
; %bb.1:
	s_clause 0x1
	s_load_dwordx4 s[0:3], s[4:5], 0x18
	s_load_dwordx4 s[12:15], s[4:5], 0x0
	v_mul_lo_u16 v1, v1, 56
	v_sub_nc_u16 v0, v0, v1
	v_and_b32_e32 v71, 0xffff, v0
	v_or_b32_e32 v54, 0x380, v71
	v_or_b32_e32 v53, 0x1c0, v71
	v_lshlrev_b32_e32 v60, 2, v71
	s_waitcnt lgkmcnt(0)
	s_load_dwordx4 s[8:11], s[0:1], 0x0
	v_lshlrev_b32_e32 v76, 3, v71
	v_lshlrev_b32_e32 v75, 2, v54
	s_clause 0x7
	global_load_dword v74, v60, s[12:13]
	global_load_dword v72, v60, s[12:13] offset:224
	global_load_dword v69, v60, s[12:13] offset:448
	;; [unrolled: 1-line block ×6, first 2 shown]
	global_load_dword v57, v75, s[12:13]
	v_add_co_u32 v16, s0, s12, v60
	v_add_co_ci_u32_e64 v17, null, s13, 0, s0
	v_lshlrev_b32_e32 v78, 3, v53
	s_waitcnt lgkmcnt(0)
	v_mad_u64_u32 v[1:2], null, s10, v12, 0
	v_mad_u64_u32 v[3:4], null, s8, v71, 0
	;; [unrolled: 1-line block ×4, first 2 shown]
	s_mul_i32 s0, s9, 0x7e0
	s_mul_hi_u32 s1, s8, 0x7e0
	v_mad_u64_u32 v[9:10], null, s11, v12, v[2:3]
	v_mad_u64_u32 v[10:11], null, s9, v71, v[4:5]
	;; [unrolled: 1-line block ×3, first 2 shown]
	s_mul_i32 s6, s8, 0x7e0
	s_add_i32 s1, s1, s0
	v_mov_b32_e32 v2, v9
	v_mad_u64_u32 v[14:15], null, s9, v53, v[8:9]
	v_mov_b32_e32 v4, v10
	v_mov_b32_e32 v6, v13
	v_lshlrev_b64 v[1:2], 2, v[1:2]
	s_mul_hi_u32 s10, s8, 0xfffff900
	s_mul_i32 s7, s9, 0xfffff900
	v_lshlrev_b64 v[3:4], 2, v[3:4]
	v_mov_b32_e32 v8, v14
	v_lshlrev_b64 v[5:6], 2, v[5:6]
	v_add_co_u32 v9, vcc_lo, s18, v1
	v_add_co_ci_u32_e32 v10, vcc_lo, s19, v2, vcc_lo
	v_lshlrev_b64 v[1:2], 2, v[7:8]
	v_add_co_u32 v3, vcc_lo, v9, v3
	v_add_co_ci_u32_e32 v4, vcc_lo, v10, v4, vcc_lo
	v_add_co_u32 v5, vcc_lo, v9, v5
	v_add_co_ci_u32_e32 v6, vcc_lo, v10, v6, vcc_lo
	;; [unrolled: 2-line block ×3, first 2 shown]
	global_load_dword v18, v[3:4], off
	v_add_co_u32 v3, vcc_lo, v3, s6
	v_add_co_ci_u32_e32 v4, vcc_lo, s1, v4, vcc_lo
	s_mul_i32 s11, s8, 0xfffff900
	s_sub_i32 s0, s10, s8
	s_clause 0x1
	global_load_dword v19, v[5:6], off
	global_load_dword v20, v[1:2], off
	s_add_i32 s0, s0, s7
	v_add_co_u32 v1, vcc_lo, v3, s11
	v_add_co_ci_u32_e32 v2, vcc_lo, s0, v4, vcc_lo
	global_load_dword v21, v[3:4], off
	v_add_co_u32 v3, vcc_lo, v1, s6
	v_add_co_ci_u32_e32 v4, vcc_lo, s1, v2, vcc_lo
	v_add_co_u32 v5, vcc_lo, 0x800, v16
	v_add_co_ci_u32_e32 v6, vcc_lo, 0, v17, vcc_lo
	;; [unrolled: 2-line block ×3, first 2 shown]
	s_clause 0x1
	global_load_dword v17, v[1:2], off
	global_load_dword v22, v[3:4], off
	v_add_co_u32 v1, vcc_lo, v7, s6
	v_add_co_ci_u32_e32 v2, vcc_lo, s1, v8, vcc_lo
	global_load_dword v23, v[7:8], off
	v_add_co_u32 v3, vcc_lo, v1, s11
	v_add_co_ci_u32_e32 v4, vcc_lo, s0, v2, vcc_lo
	global_load_dword v70, v[5:6], off offset:192
	v_add_co_u32 v9, vcc_lo, v3, s6
	v_add_co_ci_u32_e32 v10, vcc_lo, s1, v4, vcc_lo
	global_load_dword v24, v[1:2], off
	v_add_co_u32 v7, vcc_lo, v9, s11
	v_add_co_ci_u32_e32 v8, vcc_lo, s0, v10, vcc_lo
	s_clause 0x1
	global_load_dword v68, v[5:6], off offset:416
	global_load_dword v66, v[5:6], off offset:640
	v_add_co_u32 v1, vcc_lo, v7, s6
	v_add_co_ci_u32_e32 v2, vcc_lo, s1, v8, vcc_lo
	global_load_dword v25, v[3:4], off
	v_add_co_u32 v13, vcc_lo, v1, s11
	v_add_co_ci_u32_e32 v14, vcc_lo, s0, v2, vcc_lo
	global_load_dword v26, v[9:10], off
	;; [unrolled: 3-line block ×4, first 2 shown]
	global_load_dword v64, v[5:6], off offset:864
	v_add_co_u32 v7, vcc_lo, v9, s6
	v_add_co_ci_u32_e32 v8, vcc_lo, s1, v10, vcc_lo
	global_load_dword v13, v[13:14], off
	global_load_dword v63, v60, s[12:13] offset:1120
	global_load_dword v14, v[3:4], off
	global_load_dword v62, v[5:6], off offset:1088
	global_load_dword v29, v[9:10], off
	v_add_co_u32 v15, vcc_lo, v7, s11
	v_add_co_ci_u32_e32 v16, vcc_lo, s0, v8, vcc_lo
	v_add_nc_u32_e32 v4, 0x400, v60
	v_lshlrev_b32_e32 v10, 1, v71
	v_and_b32_e32 v11, 1, v71
	v_mad_u64_u32 v[1:2], null, 0x8c0, s8, v[15:16]
	v_add_co_u32 v9, null, 0x118, v71
	v_lshlrev_b32_e32 v40, 2, v11
	v_add_nc_u32_e32 v135, 0x2a0, v10
	v_add_nc_u32_e32 v136, 0x310, v10
	v_lshlrev_b32_e32 v81, 3, v9
	v_mad_u64_u32 v[2:3], null, 0x8c0, s9, v[2:3]
	global_load_dword v61, v60, s[12:13] offset:1344
	global_load_dword v30, v[7:8], off
	global_load_dword v59, v[5:6], off offset:1312
	global_load_dword v15, v[15:16], off
	global_load_dword v16, v[1:2], off
	s_clause 0x1
	global_load_dword v58, v60, s[12:13] offset:1568
	global_load_dword v55, v[5:6], off offset:1760
	v_add_nc_u32_e32 v2, 0x800, v60
	v_add_nc_u32_e32 v5, 0x200, v60
	;; [unrolled: 1-line block ×3, first 2 shown]
	s_load_dwordx4 s[8:11], s[2:3], 0x0
	v_add_co_u32 v6, null, v71, 56
	v_add_co_u32 v1, null, 0x70, v71
	;; [unrolled: 1-line block ×4, first 2 shown]
	v_lshlrev_b32_e32 v82, 3, v6
	v_lshlrev_b32_e32 v80, 3, v1
	;; [unrolled: 1-line block ×4, first 2 shown]
	v_cmp_gt_u16_e32 vcc_lo, 48, v0
	s_load_dwordx2 s[2:3], s[4:5], 0x38
	s_waitcnt vmcnt(27)
	v_lshrrev_b32_e32 v31, 16, v18
	v_mul_f16_sdwa v32, v74, v18 dst_sel:DWORD dst_unused:UNUSED_PAD src0_sel:WORD_1 src1_sel:DWORD
	v_mul_f16_sdwa v37, v74, v31 dst_sel:DWORD dst_unused:UNUSED_PAD src0_sel:WORD_1 src1_sel:DWORD
	s_waitcnt vmcnt(26)
	v_lshrrev_b32_e32 v33, 16, v19
	v_mul_f16_sdwa v34, v57, v19 dst_sel:DWORD dst_unused:UNUSED_PAD src0_sel:WORD_1 src1_sel:DWORD
	s_waitcnt vmcnt(25)
	v_lshrrev_b32_e32 v35, 16, v20
	v_mul_f16_sdwa v36, v56, v20 dst_sel:DWORD dst_unused:UNUSED_PAD src0_sel:WORD_1 src1_sel:DWORD
	v_fma_f16 v31, v74, v31, -v32
	v_mul_f16_sdwa v39, v57, v33 dst_sel:DWORD dst_unused:UNUSED_PAD src0_sel:WORD_1 src1_sel:DWORD
	v_fma_f16 v33, v57, v33, -v34
	s_waitcnt vmcnt(24)
	v_lshrrev_b32_e32 v32, 16, v21
	v_mul_f16_sdwa v38, v73, v21 dst_sel:DWORD dst_unused:UNUSED_PAD src0_sel:WORD_1 src1_sel:DWORD
	v_mul_f16_sdwa v34, v56, v35 dst_sel:DWORD dst_unused:UNUSED_PAD src0_sel:WORD_1 src1_sel:DWORD
	v_fma_f16 v35, v56, v35, -v36
	v_fmac_f16_e32 v37, v74, v18
	v_mul_f16_sdwa v18, v73, v32 dst_sel:DWORD dst_unused:UNUSED_PAD src0_sel:WORD_1 src1_sel:DWORD
	v_fma_f16 v32, v73, v32, -v38
	v_fmac_f16_e32 v39, v57, v19
	v_fmac_f16_e32 v34, v56, v20
	v_pack_b32_f16 v19, v37, v31
	v_fmac_f16_e32 v18, v73, v21
	v_pack_b32_f16 v33, v39, v33
	s_waitcnt vmcnt(23)
	v_lshrrev_b32_e32 v36, 16, v17
	v_mul_f16_sdwa v38, v72, v17 dst_sel:DWORD dst_unused:UNUSED_PAD src0_sel:WORD_1 src1_sel:DWORD
	s_waitcnt vmcnt(22)
	v_lshrrev_b32_e32 v31, 16, v22
	v_pack_b32_f16 v34, v34, v35
	v_pack_b32_f16 v18, v18, v32
	v_mul_f16_sdwa v20, v72, v36 dst_sel:DWORD dst_unused:UNUSED_PAD src0_sel:WORD_1 src1_sel:DWORD
	v_fma_f16 v21, v72, v36, -v38
	s_waitcnt vmcnt(21)
	v_lshrrev_b32_e32 v32, 16, v23
	v_mul_f16_sdwa v35, v69, v23 dst_sel:DWORD dst_unused:UNUSED_PAD src0_sel:WORD_1 src1_sel:DWORD
	ds_write_b32 v60, v18 offset:2016
	v_fmac_f16_e32 v20, v72, v17
	s_waitcnt vmcnt(20)
	v_mul_f16_sdwa v17, v70, v31 dst_sel:DWORD dst_unused:UNUSED_PAD src0_sel:WORD_1 src1_sel:DWORD
	v_mul_f16_sdwa v36, v70, v22 dst_sel:DWORD dst_unused:UNUSED_PAD src0_sel:WORD_1 src1_sel:DWORD
	v_pack_b32_f16 v18, v20, v21
	v_fmac_f16_e32 v17, v70, v22
	v_mul_f16_sdwa v20, v69, v32 dst_sel:DWORD dst_unused:UNUSED_PAD src0_sel:WORD_1 src1_sel:DWORD
	v_fma_f16 v21, v69, v32, -v35
	s_waitcnt vmcnt(19)
	v_lshrrev_b32_e32 v22, 16, v24
	s_waitcnt vmcnt(18)
	v_mul_f16_sdwa v32, v68, v24 dst_sel:DWORD dst_unused:UNUSED_PAD src0_sel:WORD_1 src1_sel:DWORD
	v_fma_f16 v31, v70, v31, -v36
	ds_write2_b32 v60, v19, v18 offset1:56
	v_fmac_f16_e32 v20, v69, v23
	v_mul_f16_sdwa v18, v68, v22 dst_sel:DWORD dst_unused:UNUSED_PAD src0_sel:WORD_1 src1_sel:DWORD
	v_fma_f16 v19, v68, v22, -v32
	s_waitcnt vmcnt(16)
	v_lshrrev_b32_e32 v22, 16, v25
	v_pack_b32_f16 v17, v17, v31
	v_mul_f16_sdwa v23, v67, v25 dst_sel:DWORD dst_unused:UNUSED_PAD src0_sel:WORD_1 src1_sel:DWORD
	v_pack_b32_f16 v20, v20, v21
	v_fmac_f16_e32 v18, v68, v24
	v_mul_f16_sdwa v21, v67, v22 dst_sel:DWORD dst_unused:UNUSED_PAD src0_sel:WORD_1 src1_sel:DWORD
	s_waitcnt vmcnt(15)
	v_lshrrev_b32_e32 v24, 16, v26
	v_mul_f16_sdwa v31, v66, v26 dst_sel:DWORD dst_unused:UNUSED_PAD src0_sel:WORD_1 src1_sel:DWORD
	v_fma_f16 v22, v67, v22, -v23
	v_pack_b32_f16 v18, v18, v19
	v_fmac_f16_e32 v21, v67, v25
	v_mul_f16_sdwa v19, v66, v24 dst_sel:DWORD dst_unused:UNUSED_PAD src0_sel:WORD_1 src1_sel:DWORD
	v_fma_f16 v23, v66, v24, -v31
	s_waitcnt vmcnt(14)
	v_lshrrev_b32_e32 v24, 16, v27
	v_mul_f16_sdwa v25, v65, v27 dst_sel:DWORD dst_unused:UNUSED_PAD src0_sel:WORD_1 src1_sel:DWORD
	ds_write2_b32 v2, v17, v18 offset0:48 offset1:104
	v_pack_b32_f16 v17, v21, v22
	v_fmac_f16_e32 v19, v66, v26
	v_mul_f16_sdwa v18, v65, v24 dst_sel:DWORD dst_unused:UNUSED_PAD src0_sel:WORD_1 src1_sel:DWORD
	s_waitcnt vmcnt(13)
	v_lshrrev_b32_e32 v22, 16, v28
	v_fma_f16 v21, v65, v24, -v25
	s_waitcnt vmcnt(12)
	v_mul_f16_sdwa v24, v64, v28 dst_sel:DWORD dst_unused:UNUSED_PAD src0_sel:WORD_1 src1_sel:DWORD
	ds_write2_b32 v60, v20, v17 offset0:112 offset1:168
	v_pack_b32_f16 v17, v19, v23
	v_fmac_f16_e32 v18, v65, v27
	v_mul_f16_sdwa v19, v64, v22 dst_sel:DWORD dst_unused:UNUSED_PAD src0_sel:WORD_1 src1_sel:DWORD
	s_waitcnt vmcnt(11)
	v_lshrrev_b32_e32 v20, 16, v13
	s_waitcnt vmcnt(10)
	v_mul_f16_sdwa v23, v63, v13 dst_sel:DWORD dst_unused:UNUSED_PAD src0_sel:WORD_1 src1_sel:DWORD
	v_fma_f16 v22, v64, v22, -v24
	v_pack_b32_f16 v18, v18, v21
	v_fmac_f16_e32 v19, v64, v28
	v_mul_f16_sdwa v21, v63, v20 dst_sel:DWORD dst_unused:UNUSED_PAD src0_sel:WORD_1 src1_sel:DWORD
	v_fma_f16 v20, v63, v20, -v23
	s_waitcnt vmcnt(9)
	v_lshrrev_b32_e32 v23, 16, v14
	s_waitcnt vmcnt(8)
	v_mul_f16_sdwa v24, v62, v14 dst_sel:DWORD dst_unused:UNUSED_PAD src0_sel:WORD_1 src1_sel:DWORD
	v_pack_b32_f16 v19, v19, v22
	v_fmac_f16_e32 v21, v63, v13
	s_waitcnt vmcnt(7)
	v_lshrrev_b32_e32 v13, 16, v29
	v_mul_f16_sdwa v22, v62, v23 dst_sel:DWORD dst_unused:UNUSED_PAD src0_sel:WORD_1 src1_sel:DWORD
	v_fma_f16 v23, v62, v23, -v24
	s_waitcnt vmcnt(6)
	v_mul_f16_sdwa v24, v61, v29 dst_sel:DWORD dst_unused:UNUSED_PAD src0_sel:WORD_1 src1_sel:DWORD
	v_pack_b32_f16 v20, v21, v20
	v_mul_f16_sdwa v21, v61, v13 dst_sel:DWORD dst_unused:UNUSED_PAD src0_sel:WORD_1 src1_sel:DWORD
	v_fmac_f16_e32 v22, v62, v14
	s_waitcnt vmcnt(5)
	v_lshrrev_b32_e32 v14, 16, v30
	v_fma_f16 v13, v61, v13, -v24
	s_waitcnt vmcnt(4)
	v_mul_f16_sdwa v24, v59, v30 dst_sel:DWORD dst_unused:UNUSED_PAD src0_sel:WORD_1 src1_sel:DWORD
	s_waitcnt vmcnt(3)
	v_lshrrev_b32_e32 v25, 16, v15
	s_waitcnt vmcnt(2)
	v_lshrrev_b32_e32 v27, 16, v16
	v_mul_f16_sdwa v26, v59, v14 dst_sel:DWORD dst_unused:UNUSED_PAD src0_sel:WORD_1 src1_sel:DWORD
	v_fmac_f16_e32 v21, v61, v29
	v_fma_f16 v14, v59, v14, -v24
	s_waitcnt vmcnt(1)
	v_mul_f16_sdwa v24, v58, v15 dst_sel:DWORD dst_unused:UNUSED_PAD src0_sel:WORD_1 src1_sel:DWORD
	v_mul_f16_sdwa v28, v58, v25 dst_sel:DWORD dst_unused:UNUSED_PAD src0_sel:WORD_1 src1_sel:DWORD
	s_waitcnt vmcnt(0)
	v_mul_f16_sdwa v29, v55, v16 dst_sel:DWORD dst_unused:UNUSED_PAD src0_sel:WORD_1 src1_sel:DWORD
	v_mul_f16_sdwa v31, v55, v27 dst_sel:DWORD dst_unused:UNUSED_PAD src0_sel:WORD_1 src1_sel:DWORD
	v_fmac_f16_e32 v26, v59, v30
	v_fma_f16 v24, v58, v25, -v24
	v_fmac_f16_e32 v28, v58, v15
	v_fma_f16 v15, v55, v27, -v29
	v_fmac_f16_e32 v31, v55, v16
	v_pack_b32_f16 v16, v22, v23
	v_pack_b32_f16 v14, v26, v14
	;; [unrolled: 1-line block ×5, first 2 shown]
	ds_write_b32 v60, v34 offset:1792
	ds_write2_b32 v2, v17, v19 offset0:160 offset1:216
	ds_write2_b32 v5, v18, v20 offset0:96 offset1:152
	;; [unrolled: 1-line block ×5, first 2 shown]
	s_waitcnt lgkmcnt(0)
	s_barrier
	buffer_gl0_inv
	ds_read2_b32 v[13:14], v60 offset1:56
	ds_read2_b32 v[15:16], v4 offset0:192 offset1:248
	ds_read2_b32 v[17:18], v2 offset0:48 offset1:104
	;; [unrolled: 1-line block ×8, first 2 shown]
	v_lshlrev_b32_e32 v31, 2, v10
	s_waitcnt lgkmcnt(0)
	s_barrier
	buffer_gl0_inv
	v_add_nc_u32_e32 v41, 0x800, v31
	v_pk_add_f16 v31, v13, v16 neg_lo:[0,1] neg_hi:[0,1]
	v_pk_add_f16 v17, v14, v17 neg_lo:[0,1] neg_hi:[0,1]
	;; [unrolled: 1-line block ×9, first 2 shown]
	v_pk_fma_f16 v30, v13, 2.0, v31 op_sel_hi:[1,0,1] neg_lo:[0,0,1] neg_hi:[0,0,1]
	v_pk_fma_f16 v16, v14, 2.0, v17 op_sel_hi:[1,0,1] neg_lo:[0,0,1] neg_hi:[0,0,1]
	;; [unrolled: 1-line block ×9, first 2 shown]
	ds_write_b64 v76, v[30:31]
	ds_write_b64 v82, v[16:17]
	;; [unrolled: 1-line block ×6, first 2 shown]
	ds_write2_b64 v41, v[36:37], v[28:29] offset0:80 offset1:136
	ds_write_b64 v78, v[38:39]
	s_waitcnt lgkmcnt(0)
	s_barrier
	buffer_gl0_inv
	global_load_dword v77, v40, s[14:15]
	v_lshlrev_b32_e32 v13, 1, v6
	v_lshlrev_b32_e32 v14, 1, v1
	;; [unrolled: 1-line block ×5, first 2 shown]
	v_and_or_b32 v19, 0x7c, v10, v11
	v_and_or_b32 v25, 0xfc, v13, v11
	;; [unrolled: 1-line block ×7, first 2 shown]
	v_lshlrev_b32_e32 v85, 2, v19
	ds_read2_b32 v[19:20], v4 offset0:192 offset1:248
	ds_read2_b32 v[21:22], v60 offset1:56
	ds_read2_b32 v[23:24], v2 offset0:48 offset1:104
	v_lshlrev_b32_e32 v86, 2, v25
	v_lshlrev_b32_e32 v87, 2, v26
	ds_read2_b32 v[25:26], v60 offset0:112 offset1:168
	ds_read2_b32 v[27:28], v2 offset0:160 offset1:216
	v_lshlrev_b32_e32 v88, 2, v29
	v_lshlrev_b32_e32 v89, 2, v30
	ds_read2_b32 v[29:30], v5 offset0:96 offset1:152
	ds_read2_b32 v[31:32], v3 offset0:16 offset1:72
	v_lshlrev_b32_e32 v90, 2, v33
	v_lshlrev_b32_e32 v91, 2, v34
	ds_read2_b32 v[33:34], v4 offset0:80 offset1:136
	ds_read2_b32 v[35:36], v3 offset0:128 offset1:184
	v_lshlrev_b32_e32 v18, 1, v53
	v_and_or_b32 v39, 0x3fc, v136, v11
	v_and_b32_e32 v37, 3, v71
	s_waitcnt vmcnt(0) lgkmcnt(0)
	s_barrier
	v_and_or_b32 v11, 0x3fc, v18, v11
	v_lshlrev_b32_e32 v92, 2, v39
	v_lshlrev_b32_e32 v38, 2, v37
	v_lshrrev_b32_e32 v95, 16, v19
	v_lshrrev_b32_e32 v39, 16, v21
	v_lshlrev_b32_e32 v93, 2, v11
	v_lshrrev_b32_e32 v11, 16, v20
	v_lshrrev_b32_e32 v40, 16, v23
	;; [unrolled: 1-line block ×16, first 2 shown]
	buffer_gl0_inv
	v_mul_f16_sdwa v96, v11, v77 dst_sel:DWORD dst_unused:UNUSED_PAD src0_sel:DWORD src1_sel:WORD_1
	v_mul_f16_sdwa v97, v20, v77 dst_sel:DWORD dst_unused:UNUSED_PAD src0_sel:DWORD src1_sel:WORD_1
	;; [unrolled: 1-line block ×18, first 2 shown]
	v_fma_f16 v20, v20, v77, -v96
	v_fmac_f16_e32 v97, v11, v77
	v_fmac_f16_e32 v98, v40, v77
	v_fma_f16 v11, v23, v77, -v99
	v_fma_f16 v23, v24, v77, -v100
	v_fmac_f16_e32 v101, v42, v77
	v_fmac_f16_e32 v102, v44, v77
	v_fma_f16 v24, v27, v77, -v103
	;; [unrolled: 4-line block ×4, first 2 shown]
	v_fma_f16 v35, v36, v77, -v112
	v_fmac_f16_e32 v113, v94, v77
	v_sub_f16_e32 v20, v21, v20
	v_sub_f16_e32 v36, v39, v97
	;; [unrolled: 1-line block ×18, first 2 shown]
	v_fma_f16 v21, v21, 2.0, -v20
	v_fma_f16 v39, v39, 2.0, -v36
	v_pack_b32_f16 v20, v20, v36
	v_fma_f16 v22, v22, 2.0, -v11
	v_fma_f16 v36, v41, 2.0, -v40
	v_pack_b32_f16 v11, v11, v40
	v_fma_f16 v40, v43, 2.0, -v42
	v_pack_b32_f16 v41, v23, v42
	v_fma_f16 v23, v25, 2.0, -v23
	v_fma_f16 v25, v26, 2.0, -v24
	;; [unrolled: 1-line block ×4, first 2 shown]
	v_pack_b32_f16 v43, v27, v46
	v_fma_f16 v27, v29, 2.0, -v27
	v_pack_b32_f16 v24, v24, v44
	v_fma_f16 v29, v30, 2.0, -v28
	v_fma_f16 v30, v49, 2.0, -v48
	;; [unrolled: 1-line block ×3, first 2 shown]
	v_pack_b32_f16 v45, v31, v50
	v_fma_f16 v31, v33, 2.0, -v31
	v_fma_f16 v33, v34, 2.0, -v32
	v_fma_f16 v34, v84, 2.0, -v52
	v_fma_f16 v19, v19, 2.0, -v35
	v_fma_f16 v46, v95, 2.0, -v94
	v_pack_b32_f16 v21, v21, v39
	v_pack_b32_f16 v22, v22, v36
	;; [unrolled: 1-line block ×12, first 2 shown]
	ds_write2_b32 v85, v21, v20 offset1:2
	ds_write2_b32 v86, v22, v11 offset1:2
	;; [unrolled: 1-line block ×9, first 2 shown]
	s_waitcnt lgkmcnt(0)
	s_barrier
	buffer_gl0_inv
	global_load_dword v84, v38, s[14:15] offset:8
	v_and_or_b32 v19, 0x78, v10, v37
	v_and_or_b32 v25, 0xf8, v13, v37
	;; [unrolled: 1-line block ×7, first 2 shown]
	v_lshlrev_b32_e32 v94, 2, v19
	ds_read2_b32 v[19:20], v4 offset0:192 offset1:248
	ds_read2_b32 v[21:22], v60 offset1:56
	ds_read2_b32 v[23:24], v2 offset0:48 offset1:104
	v_lshlrev_b32_e32 v95, 2, v25
	v_lshlrev_b32_e32 v96, 2, v26
	ds_read2_b32 v[25:26], v60 offset0:112 offset1:168
	ds_read2_b32 v[27:28], v2 offset0:160 offset1:216
	v_lshlrev_b32_e32 v97, 2, v29
	v_lshlrev_b32_e32 v98, 2, v30
	ds_read2_b32 v[29:30], v5 offset0:96 offset1:152
	;; [unrolled: 4-line block ×3, first 2 shown]
	ds_read2_b32 v[35:36], v3 offset0:128 offset1:184
	v_and_or_b32 v39, 0x3f8, v136, v37
	v_and_or_b32 v37, 0x3f8, v18, v37
	v_and_b32_e32 v11, 7, v71
	s_waitcnt vmcnt(0) lgkmcnt(0)
	s_barrier
	v_lshlrev_b32_e32 v102, 2, v39
	v_lshlrev_b32_e32 v103, 2, v37
	;; [unrolled: 1-line block ×3, first 2 shown]
	v_lshrrev_b32_e32 v37, 16, v20
	v_lshrrev_b32_e32 v39, 16, v21
	;; [unrolled: 1-line block ×18, first 2 shown]
	buffer_gl0_inv
	v_and_or_b32 v10, 0x70, v10, v11
	v_mul_f16_sdwa v106, v20, v84 dst_sel:DWORD dst_unused:UNUSED_PAD src0_sel:DWORD src1_sel:WORD_1
	v_mul_f16_sdwa v107, v37, v84 dst_sel:DWORD dst_unused:UNUSED_PAD src0_sel:DWORD src1_sel:WORD_1
	;; [unrolled: 1-line block ×18, first 2 shown]
	v_fmac_f16_e32 v106, v37, v84
	v_fma_f16 v20, v20, v84, -v107
	v_fmac_f16_e32 v108, v40, v84
	v_fma_f16 v23, v23, v84, -v109
	v_fma_f16 v24, v24, v84, -v110
	v_fmac_f16_e32 v111, v42, v84
	v_fmac_f16_e32 v112, v44, v84
	v_fma_f16 v27, v27, v84, -v113
	v_fma_f16 v28, v28, v84, -v114
	v_fmac_f16_e32 v115, v46, v84
	;; [unrolled: 4-line block ×4, first 2 shown]
	v_sub_f16_e32 v37, v39, v106
	v_sub_f16_e32 v20, v21, v20
	;; [unrolled: 1-line block ×18, first 2 shown]
	v_fma_f16 v39, v39, 2.0, -v37
	v_pack_b32_f16 v37, v20, v37
	v_fma_f16 v20, v21, 2.0, -v20
	v_fma_f16 v21, v22, 2.0, -v23
	;; [unrolled: 1-line block ×3, first 2 shown]
	v_pack_b32_f16 v23, v23, v40
	v_fma_f16 v40, v43, 2.0, -v42
	v_pack_b32_f16 v41, v24, v42
	v_fma_f16 v24, v25, 2.0, -v24
	v_fma_f16 v25, v26, 2.0, -v27
	;; [unrolled: 1-line block ×4, first 2 shown]
	v_pack_b32_f16 v43, v28, v46
	v_fma_f16 v28, v29, 2.0, -v28
	v_pack_b32_f16 v27, v27, v44
	v_fma_f16 v29, v30, 2.0, -v31
	v_fma_f16 v30, v49, 2.0, -v48
	;; [unrolled: 1-line block ×3, first 2 shown]
	v_pack_b32_f16 v45, v32, v50
	v_fma_f16 v32, v33, 2.0, -v32
	v_fma_f16 v33, v34, 2.0, -v35
	;; [unrolled: 1-line block ×5, first 2 shown]
	v_pack_b32_f16 v20, v20, v39
	v_pack_b32_f16 v21, v21, v22
	;; [unrolled: 1-line block ×12, first 2 shown]
	ds_write2_b32 v94, v20, v37 offset1:4
	ds_write2_b32 v95, v21, v23 offset1:4
	;; [unrolled: 1-line block ×9, first 2 shown]
	s_waitcnt lgkmcnt(0)
	s_barrier
	buffer_gl0_inv
	global_load_dword v101, v38, s[14:15] offset:24
	v_and_or_b32 v19, 0xf0, v13, v11
	v_and_or_b32 v20, 0x1f0, v14, v11
	;; [unrolled: 1-line block ×6, first 2 shown]
	v_lshlrev_b32_e32 v107, 2, v10
	v_and_or_b32 v33, 0x3f0, v136, v11
	v_and_or_b32 v34, 0x3f0, v18, v11
	ds_read2_b32 v[10:11], v4 offset0:192 offset1:248
	ds_read2_b32 v[13:14], v60 offset1:56
	ds_read2_b32 v[15:16], v2 offset0:48 offset1:104
	v_lshlrev_b32_e32 v114, 2, v19
	v_lshlrev_b32_e32 v115, 2, v20
	ds_read2_b32 v[17:18], v60 offset0:112 offset1:168
	ds_read2_b32 v[19:20], v2 offset0:160 offset1:216
	v_lshlrev_b32_e32 v116, 2, v21
	v_lshlrev_b32_e32 v108, 2, v22
	ds_read2_b32 v[21:22], v5 offset0:96 offset1:152
	;; [unrolled: 4-line block ×3, first 2 shown]
	ds_read2_b32 v[27:28], v3 offset0:128 offset1:184
	v_lshlrev_b32_e32 v112, 2, v33
	v_lshlrev_b32_e32 v113, 2, v34
	v_and_b32_e32 v30, 15, v9
	v_and_b32_e32 v31, 15, v7
	s_waitcnt vmcnt(0) lgkmcnt(0)
	s_barrier
	buffer_gl0_inv
	v_and_b32_e32 v29, 15, v71
	v_lshrrev_b32_e32 v33, 16, v11
	v_lshrrev_b32_e32 v34, 16, v13
	;; [unrolled: 1-line block ×18, first 2 shown]
	v_lshlrev_b32_e32 v35, 3, v30
	v_lshlrev_b32_e32 v36, 3, v31
	;; [unrolled: 1-line block ×3, first 2 shown]
	v_mul_f16_sdwa v104, v11, v101 dst_sel:DWORD dst_unused:UNUSED_PAD src0_sel:DWORD src1_sel:WORD_1
	v_mul_f16_sdwa v105, v33, v101 dst_sel:DWORD dst_unused:UNUSED_PAD src0_sel:DWORD src1_sel:WORD_1
	;; [unrolled: 1-line block ×18, first 2 shown]
	v_fmac_f16_e32 v104, v33, v101
	v_fma_f16 v11, v11, v101, -v105
	v_fmac_f16_e32 v106, v37, v101
	v_fma_f16 v15, v15, v101, -v111
	v_fma_f16 v16, v16, v101, -v117
	v_fmac_f16_e32 v118, v39, v101
	v_fmac_f16_e32 v119, v41, v101
	v_fma_f16 v19, v19, v101, -v120
	v_fma_f16 v20, v20, v101, -v121
	v_fmac_f16_e32 v122, v43, v101
	;; [unrolled: 4-line block ×4, first 2 shown]
	v_sub_f16_e32 v33, v34, v104
	v_sub_f16_e32 v11, v13, v11
	;; [unrolled: 1-line block ×18, first 2 shown]
	v_fma_f16 v34, v34, 2.0, -v33
	v_pack_b32_f16 v33, v11, v33
	v_fma_f16 v11, v13, 2.0, -v11
	v_fma_f16 v13, v14, 2.0, -v15
	;; [unrolled: 1-line block ×3, first 2 shown]
	v_pack_b32_f16 v15, v15, v37
	v_fma_f16 v37, v40, 2.0, -v39
	v_pack_b32_f16 v38, v16, v39
	v_fma_f16 v16, v17, 2.0, -v16
	v_fma_f16 v17, v18, 2.0, -v19
	v_fma_f16 v18, v42, 2.0, -v41
	v_fma_f16 v39, v44, 2.0, -v43
	v_pack_b32_f16 v40, v20, v43
	v_fma_f16 v20, v21, 2.0, -v20
	v_pack_b32_f16 v19, v19, v41
	v_fma_f16 v21, v22, 2.0, -v23
	v_fma_f16 v22, v46, 2.0, -v45
	;; [unrolled: 1-line block ×3, first 2 shown]
	v_pack_b32_f16 v42, v24, v47
	v_fma_f16 v24, v25, 2.0, -v24
	v_fma_f16 v25, v26, 2.0, -v27
	;; [unrolled: 1-line block ×5, first 2 shown]
	v_pack_b32_f16 v11, v11, v34
	v_pack_b32_f16 v13, v13, v14
	;; [unrolled: 1-line block ×12, first 2 shown]
	ds_write2_b32 v107, v11, v33 offset1:8
	ds_write2_b32 v114, v13, v15 offset1:8
	;; [unrolled: 1-line block ×9, first 2 shown]
	v_and_b32_e32 v17, 15, v6
	s_waitcnt lgkmcnt(0)
	s_barrier
	buffer_gl0_inv
	s_clause 0x7
	global_load_dword v105, v35, s[14:15] offset:56
	global_load_dword v111, v35, s[14:15] offset:58
	;; [unrolled: 1-line block ×3, first 2 shown]
	global_load_ushort v106, v35, s[14:15] offset:62
	global_load_ushort v117, v36, s[14:15] offset:56
	global_load_dwordx2 v[13:14], v32, s[14:15] offset:56
	global_load_ushort v120, v36, s[14:15] offset:58
	global_load_ushort v119, v36, s[14:15] offset:62
	v_lshlrev_b32_e32 v10, 3, v17
	s_clause 0x1
	global_load_ushort v121, v10, s[14:15] offset:56
	global_load_ushort v118, v36, s[14:15] offset:60
	v_add_co_u32 v10, s0, 0xffffffd0, v71
	v_add_co_ci_u32_e64 v11, null, 0, -1, s0
	v_lshrrev_b32_e32 v15, 4, v71
	v_mov_b32_e32 v16, 0xaaab
	v_cndmask_b32_e32 v10, v10, v71, vcc_lo
	v_cndmask_b32_e64 v11, v11, 0, vcc_lo
	v_lshrrev_b32_e32 v19, 4, v6
	v_mul_u32_u24_e32 v18, 48, v15
	v_lshrrev_b32_e32 v20, 4, v1
	v_lshrrev_b32_e32 v21, 4, v7
	;; [unrolled: 1-line block ×4, first 2 shown]
	v_and_b32_e32 v24, 0xff, v6
	v_and_b32_e32 v25, 0xff, v7
	v_mul_u32_u24_sdwa v27, v8, v16 dst_sel:DWORD dst_unused:UNUSED_PAD src0_sel:WORD_0 src1_sel:DWORD
	v_mul_u32_u24_sdwa v28, v9, v16 dst_sel:DWORD dst_unused:UNUSED_PAD src0_sel:WORD_0 src1_sel:DWORD
	v_lshlrev_b64 v[15:16], 3, v[10:11]
	v_or_b32_e32 v11, v18, v29
	v_mul_u32_u24_e32 v18, 48, v19
	v_mul_u32_u24_e32 v19, 48, v20
	;; [unrolled: 1-line block ×5, first 2 shown]
	v_mul_lo_u16 v23, 0xab, v24
	v_mul_lo_u16 v24, 0xab, v25
	v_and_b32_e32 v26, 0xff, v1
	v_lshrrev_b32_e32 v32, 21, v27
	v_lshrrev_b32_e32 v33, 21, v28
	v_lshlrev_b32_e32 v127, 2, v11
	v_or_b32_e32 v11, v18, v17
	v_or_b32_e32 v17, v19, v29
	;; [unrolled: 1-line block ×3, first 2 shown]
	v_lshrrev_b16 v31, 13, v23
	v_lshrrev_b16 v34, 13, v24
	v_mul_lo_u16 v25, 0xab, v26
	v_or_b32_e32 v19, v21, v29
	v_or_b32_e32 v20, v22, v30
	v_mul_lo_u16 v21, v32, 48
	v_mul_lo_u16 v22, v33, 48
	v_lshlrev_b32_e32 v126, 2, v11
	v_lshlrev_b32_e32 v125, 2, v17
	v_mul_lo_u16 v11, v31, 48
	v_mul_lo_u16 v17, v34, 48
	v_lshrrev_b16 v35, 13, v25
	v_sub_nc_u16 v36, v8, v21
	v_sub_nc_u16 v37, v9, v22
	;; [unrolled: 1-line block ×4, first 2 shown]
	ds_read2_b32 v[6:7], v4 offset0:80 offset1:136
	ds_read2_b32 v[8:9], v2 offset0:160 offset1:216
	v_lshlrev_b32_e32 v124, 2, v18
	v_lshlrev_b32_e32 v123, 2, v19
	;; [unrolled: 1-line block ×3, first 2 shown]
	v_mul_lo_u16 v18, v35, 48
	ds_read2_b32 v[19:20], v4 offset0:192 offset1:248
	ds_read2_b32 v[21:22], v3 offset0:16 offset1:72
	v_and_b32_e32 v42, 0xff, v25
	ds_read2_b32 v[25:26], v2 offset0:48 offset1:104
	ds_read2_b32 v[27:28], v3 offset0:128 offset1:184
	v_sub_nc_u16 v23, v1, v18
	ds_read2_b32 v[17:18], v60 offset1:56
	ds_read2_b32 v[29:30], v5 offset0:96 offset1:152
	v_lshlrev_b16 v38, 3, v36
	v_and_b32_e32 v11, 0xff, v11
	v_and_b32_e32 v41, 0xff, v23
	ds_read2_b32 v[23:24], v60 offset0:112 offset1:168
	v_lshlrev_b16 v39, 3, v37
	v_add_co_u32 v15, vcc_lo, s14, v15
	s_waitcnt lgkmcnt(8)
	v_lshrrev_b32_e32 v44, 16, v6
	v_lshrrev_b32_e32 v45, 16, v7
	s_waitcnt lgkmcnt(7)
	v_lshrrev_b32_e32 v46, 16, v8
	v_lshrrev_b32_e32 v47, 16, v9
	v_add_co_ci_u32_e32 v16, vcc_lo, s15, v16, vcc_lo
	s_waitcnt lgkmcnt(6)
	v_lshrrev_b32_e32 v50, 16, v19
	s_waitcnt lgkmcnt(5)
	v_lshrrev_b32_e32 v52, 16, v21
	v_lshrrev_b32_e32 v51, 16, v20
	;; [unrolled: 1-line block ×3, first 2 shown]
	s_waitcnt lgkmcnt(4)
	v_lshrrev_b32_e32 v131, 16, v25
	v_lshrrev_b32_e32 v132, 16, v26
	s_waitcnt lgkmcnt(3)
	v_lshrrev_b32_e32 v133, 16, v27
	v_lshrrev_b32_e32 v137, 16, v28
	;; [unrolled: 3-line block ×4, first 2 shown]
	v_lshrrev_b32_e32 v138, 16, v30
	v_lshrrev_b32_e32 v139, 16, v29
	v_lshlrev_b32_e32 v43, 3, v41
	s_waitcnt vmcnt(0)
	s_barrier
	buffer_gl0_inv
	v_lshlrev_b32_e32 v40, 3, v11
	v_cmp_lt_u16_e32 vcc_lo, 47, v0
	v_mad_u16 v33, 0x90, v33, v37
	v_mul_f16_sdwa v141, v45, v105 dst_sel:DWORD dst_unused:UNUSED_PAD src0_sel:DWORD src1_sel:WORD_1
	v_mul_f16_sdwa v143, v7, v105 dst_sel:DWORD dst_unused:UNUSED_PAD src0_sel:DWORD src1_sel:WORD_1
	v_lshrrev_b32_e32 v134, 16, v111
	v_mul_f16_sdwa v145, v47, v104 dst_sel:DWORD dst_unused:UNUSED_PAD src0_sel:DWORD src1_sel:WORD_1
	v_mul_f16_sdwa v147, v9, v104 dst_sel:DWORD dst_unused:UNUSED_PAD src0_sel:DWORD src1_sel:WORD_1
	;; [unrolled: 1-line block ×8, first 2 shown]
	v_mul_f16_e32 v151, v20, v120
	v_mul_f16_sdwa v152, v52, v14 dst_sel:DWORD dst_unused:UNUSED_PAD src0_sel:DWORD src1_sel:WORD_1
	v_mul_f16_sdwa v154, v21, v14 dst_sel:DWORD dst_unused:UNUSED_PAD src0_sel:DWORD src1_sel:WORD_1
	v_mul_f16_e32 v155, v22, v119
	v_mul_f16_e32 v149, v51, v120
	;; [unrolled: 1-line block ×3, first 2 shown]
	v_mul_f16_sdwa v156, v131, v13 dst_sel:DWORD dst_unused:UNUSED_PAD src0_sel:DWORD src1_sel:WORD_1
	v_mul_f16_e32 v157, v132, v111
	v_mul_f16_sdwa v158, v25, v13 dst_sel:DWORD dst_unused:UNUSED_PAD src0_sel:DWORD src1_sel:WORD_1
	v_mul_f16_e32 v159, v26, v111
	;; [unrolled: 2-line block ×3, first 2 shown]
	v_mul_f16_e32 v162, v28, v106
	v_mul_f16_sdwa v163, v27, v14 dst_sel:DWORD dst_unused:UNUSED_PAD src0_sel:DWORD src1_sel:WORD_1
	v_fma_f16 v6, v6, v13, -v140
	v_fma_f16 v7, v7, v121, -v141
	;; [unrolled: 1-line block ×4, first 2 shown]
	v_fmac_f16_e32 v142, v44, v13
	v_fmac_f16_e32 v146, v46, v14
	;; [unrolled: 1-line block ×4, first 2 shown]
	v_fma_f16 v19, v19, v13, -v148
	v_fma_f16 v21, v21, v14, -v152
	v_fmac_f16_e32 v150, v50, v13
	v_fmac_f16_e32 v154, v52, v14
	;; [unrolled: 1-line block ×4, first 2 shown]
	v_fma_f16 v20, v20, v117, -v149
	v_fma_f16 v22, v22, v118, -v153
	;; [unrolled: 1-line block ×6, first 2 shown]
	v_fmac_f16_e32 v159, v132, v105
	v_fmac_f16_e32 v162, v137, v104
	;; [unrolled: 1-line block ×4, first 2 shown]
	v_add_f16_e32 v44, v7, v9
	v_add_f16_e32 v46, v143, v147
	;; [unrolled: 1-line block ×8, first 2 shown]
	v_sub_f16_e32 v50, v143, v147
	v_add_f16_e32 v140, v151, v155
	v_add_f16_e32 v143, v19, v21
	;; [unrolled: 1-line block ×5, first 2 shown]
	v_sub_f16_e32 v7, v7, v9
	v_sub_f16_e32 v132, v142, v146
	v_sub_f16_e32 v6, v6, v8
	v_add_f16_e32 v133, v20, v22
	v_add_f16_e32 v137, v24, v20
	;; [unrolled: 1-line block ×3, first 2 shown]
	v_sub_f16_e32 v149, v150, v154
	v_add_f16_e32 v150, v26, v28
	v_add_f16_e32 v152, v159, v162
	;; [unrolled: 1-line block ×3, first 2 shown]
	v_sub_f16_e32 v156, v159, v162
	v_add_f16_e32 v157, v25, v27
	v_add_f16_e32 v159, v29, v25
	;; [unrolled: 1-line block ×4, first 2 shown]
	v_fmac_f16_e32 v18, -0.5, v44
	v_fmac_f16_e32 v48, -0.5, v46
	v_fma_f16 v17, -0.5, v51, v17
	v_add_f16_e32 v44, v128, v146
	v_add_f16_e32 v8, v52, v8
	v_fmac_f16_e32 v49, -0.5, v131
	v_sub_f16_e32 v142, v151, v155
	v_add_f16_e32 v151, v30, v26
	v_sub_f16_e32 v20, v20, v22
	v_sub_f16_e32 v19, v19, v21
	v_add_f16_e32 v9, v45, v9
	v_add_f16_e32 v45, v47, v147
	v_fmac_f16_e32 v129, -0.5, v140
	v_fma_f16 v23, -0.5, v143, v23
	v_add_f16_e32 v46, v145, v154
	v_add_f16_e32 v21, v144, v21
	v_fmac_f16_e32 v130, -0.5, v148
	v_sub_f16_e32 v26, v26, v28
	v_sub_f16_e32 v25, v25, v27
	;; [unrolled: 1-line block ×3, first 2 shown]
	v_fmac_f16_e32 v24, -0.5, v133
	v_add_f16_e32 v22, v137, v22
	v_add_f16_e32 v47, v141, v155
	v_fmac_f16_e32 v30, -0.5, v150
	v_fmac_f16_e32 v138, -0.5, v152
	v_fma_f16 v29, -0.5, v157, v29
	v_add_f16_e32 v27, v159, v27
	v_add_f16_e32 v51, v160, v163
	v_fmac_f16_e32 v139, -0.5, v161
	v_fmamk_f16 v128, v50, 0x3aee, v18
	v_fmac_f16_e32 v18, 0xbaee, v50
	v_fmamk_f16 v50, v7, 0xbaee, v48
	v_fmac_f16_e32 v48, 0x3aee, v7
	v_pack_b32_f16 v7, v8, v44
	v_fmamk_f16 v8, v132, 0x3aee, v17
	v_fmamk_f16 v44, v6, 0xbaee, v49
	v_fmac_f16_e32 v17, 0xbaee, v132
	v_fmac_f16_e32 v49, 0x3aee, v6
	v_add_f16_e32 v28, v151, v28
	v_add_f16_e32 v52, v153, v162
	v_pack_b32_f16 v6, v9, v45
	v_fmamk_f16 v45, v20, 0xbaee, v129
	v_fmac_f16_e32 v129, 0x3aee, v20
	v_pack_b32_f16 v20, v21, v46
	v_fmamk_f16 v21, v149, 0x3aee, v23
	v_fmamk_f16 v46, v19, 0xbaee, v130
	;; [unrolled: 1-line block ×3, first 2 shown]
	v_fmac_f16_e32 v24, 0xbaee, v142
	v_fmac_f16_e32 v23, 0xbaee, v149
	;; [unrolled: 1-line block ×3, first 2 shown]
	v_pack_b32_f16 v19, v22, v47
	v_fmamk_f16 v22, v156, 0x3aee, v30
	v_fmac_f16_e32 v30, 0xbaee, v156
	v_fmamk_f16 v47, v26, 0xbaee, v138
	v_fmac_f16_e32 v138, 0x3aee, v26
	v_pack_b32_f16 v26, v27, v51
	v_fmamk_f16 v27, v158, 0x3aee, v29
	v_fmamk_f16 v51, v25, 0xbaee, v139
	v_fmac_f16_e32 v29, 0xbaee, v158
	v_fmac_f16_e32 v139, 0x3aee, v25
	v_pack_b32_f16 v8, v8, v44
	v_pack_b32_f16 v17, v17, v49
	;; [unrolled: 1-line block ×13, first 2 shown]
	ds_write2_b32 v127, v7, v8 offset1:16
	ds_write_b32 v127, v17 offset:128
	ds_write2_b32 v126, v6, v28 offset1:16
	ds_write_b32 v126, v18 offset:128
	;; [unrolled: 2-line block ×6, first 2 shown]
	v_and_b32_e32 v7, 0xffff, v38
	v_lshlrev_b32_e32 v6, 3, v42
	v_and_b32_e32 v8, 0xffff, v39
	s_waitcnt lgkmcnt(0)
	s_barrier
	buffer_gl0_inv
	s_clause 0x3
	global_load_dwordx2 v[27:28], v[15:16], off offset:184
	global_load_dwordx2 v[25:26], v40, s[14:15] offset:184
	global_load_dwordx2 v[23:24], v43, s[14:15] offset:184
	;; [unrolled: 1-line block ×3, first 2 shown]
	v_add_co_u32 v6, s0, s14, v7
	v_add_co_ci_u32_e64 v7, null, s15, 0, s0
	v_add_co_u32 v8, s0, s14, v8
	v_add_co_ci_u32_e64 v9, null, s15, 0, s0
	s_clause 0x1
	global_load_dwordx2 v[19:20], v[6:7], off offset:184
	global_load_dwordx2 v[17:18], v[8:9], off offset:184
	v_mov_b32_e32 v29, 0x90
	v_cndmask_b32_e64 v7, 0, 0x90, vcc_lo
	v_mov_b32_e32 v38, 2
	ds_read2_b32 v[15:16], v60 offset1:56
	v_add_nc_u32_e32 v6, 0xa00, v60
	v_mul_u32_u24_sdwa v39, v31, v29 dst_sel:DWORD dst_unused:UNUSED_PAD src0_sel:WORD_0 src1_sel:DWORD
	v_mad_u16 v31, 0x90, v32, v36
	v_add_lshl_u32 v131, v10, v7, 2
	ds_read2_b32 v[7:8], v4 offset0:80 offset1:136
	ds_read2_b32 v[9:10], v2 offset0:160 offset1:216
	v_mul_u32_u24_sdwa v43, v35, v29 dst_sel:DWORD dst_unused:UNUSED_PAD src0_sel:WORD_0 src1_sel:DWORD
	v_mul_u32_u24_sdwa v44, v34, v29 dst_sel:DWORD dst_unused:UNUSED_PAD src0_sel:WORD_0 src1_sel:DWORD
	ds_read2_b32 v[29:30], v4 offset0:192 offset1:248
	v_lshlrev_b32_sdwa v128, v38, v31 dst_sel:DWORD dst_unused:UNUSED_PAD src0_sel:DWORD src1_sel:WORD_0
	ds_read2_b32 v[31:32], v3 offset0:16 offset1:72
	v_lshlrev_b32_sdwa v129, v38, v33 dst_sel:DWORD dst_unused:UNUSED_PAD src0_sel:DWORD src1_sel:WORD_0
	ds_read2_b32 v[37:38], v60 offset0:112 offset1:168
	v_add_lshl_u32 v132, v39, v11, 2
	ds_read2_b32 v[33:34], v2 offset0:48 offset1:104
	ds_read2_b32 v[39:40], v3 offset0:128 offset1:184
	;; [unrolled: 1-line block ×3, first 2 shown]
	v_add_lshl_u32 v133, v43, v41, 2
	v_add_lshl_u32 v130, v44, v42, 2
	s_waitcnt vmcnt(0) lgkmcnt(0)
	s_barrier
	v_lshrrev_b32_e32 v44, 16, v15
	v_lshrrev_b32_e32 v43, 16, v16
	buffer_gl0_inv
	v_cmp_gt_u16_e32 vcc_lo, 32, v0
	v_lshrrev_b32_e32 v5, 16, v7
	v_lshrrev_b32_e32 v11, 16, v8
	;; [unrolled: 1-line block ×16, first 2 shown]
	v_mul_f16_sdwa v141, v5, v27 dst_sel:DWORD dst_unused:UNUSED_PAD src0_sel:DWORD src1_sel:WORD_1
	v_mul_f16_sdwa v142, v11, v25 dst_sel:DWORD dst_unused:UNUSED_PAD src0_sel:DWORD src1_sel:WORD_1
	;; [unrolled: 1-line block ×24, first 2 shown]
	v_fma_f16 v7, v7, v27, -v141
	v_fma_f16 v8, v8, v25, -v142
	;; [unrolled: 1-line block ×4, first 2 shown]
	v_fmac_f16_e32 v143, v5, v27
	v_fmac_f16_e32 v147, v41, v28
	;; [unrolled: 1-line block ×4, first 2 shown]
	v_fma_f16 v5, v29, v23, -v149
	v_fma_f16 v11, v30, v21, -v150
	;; [unrolled: 1-line block ×4, first 2 shown]
	v_fmac_f16_e32 v152, v46, v21
	v_fmac_f16_e32 v155, v48, v22
	;; [unrolled: 1-line block ×6, first 2 shown]
	v_fma_f16 v31, v33, v19, -v159
	v_fma_f16 v32, v39, v20, -v160
	;; [unrolled: 1-line block ×4, first 2 shown]
	v_fmac_f16_e32 v162, v137, v17
	v_fmac_f16_e32 v164, v140, v18
	v_add_f16_e32 v39, v8, v10
	v_add_f16_e32 v41, v144, v148
	;; [unrolled: 1-line block ×8, first 2 shown]
	v_sub_f16_e32 v45, v144, v148
	v_sub_f16_e32 v52, v143, v147
	v_add_f16_e32 v137, v11, v30
	v_add_f16_e32 v140, v38, v11
	;; [unrolled: 1-line block ×4, first 2 shown]
	v_sub_f16_e32 v143, v152, v155
	v_add_f16_e32 v144, v5, v29
	v_add_f16_e32 v145, v37, v5
	;; [unrolled: 1-line block ×4, first 2 shown]
	v_sub_f16_e32 v150, v151, v156
	v_add_f16_e32 v151, v138, v157
	v_sub_f16_e32 v152, v157, v158
	v_add_f16_e32 v153, v157, v158
	v_add_f16_e32 v154, v35, v31
	;; [unrolled: 1-line block ×5, first 2 shown]
	v_sub_f16_e32 v8, v8, v10
	v_sub_f16_e32 v7, v7, v9
	v_fmac_f16_e32 v16, -0.5, v39
	v_fmac_f16_e32 v43, -0.5, v41
	v_fma_f16 v15, -0.5, v46, v15
	v_add_f16_e32 v9, v47, v9
	v_add_f16_e32 v39, v48, v147
	v_fmac_f16_e32 v44, -0.5, v51
	v_sub_f16_e32 v11, v11, v30
	v_sub_f16_e32 v5, v5, v29
	;; [unrolled: 1-line block ×3, first 2 shown]
	v_add_f16_e32 v159, v36, v33
	v_sub_f16_e32 v161, v33, v34
	v_add_f16_e32 v163, v139, v162
	v_sub_f16_e32 v162, v162, v164
	v_add_f16_e32 v10, v40, v10
	v_add_f16_e32 v40, v42, v148
	v_fmac_f16_e32 v38, -0.5, v137
	v_fmac_f16_e32 v49, -0.5, v141
	v_fma_f16 v37, -0.5, v144, v37
	v_add_f16_e32 v29, v145, v29
	v_add_f16_e32 v41, v146, v156
	v_fmac_f16_e32 v50, -0.5, v149
	v_add_f16_e32 v30, v140, v30
	v_add_f16_e32 v42, v142, v155
	;; [unrolled: 1-line block ×4, first 2 shown]
	v_fmac_f16_e32 v138, -0.5, v153
	v_fma_f16 v33, -0.5, v157, v35
	v_fmac_f16_e32 v36, -0.5, v160
	v_fmac_f16_e32 v139, -0.5, v165
	v_fmamk_f16 v47, v45, 0x3aee, v16
	v_fmac_f16_e32 v16, 0xbaee, v45
	v_fmamk_f16 v45, v8, 0xbaee, v43
	v_fmac_f16_e32 v43, 0x3aee, v8
	v_pack_b32_f16 v8, v9, v39
	v_fmamk_f16 v9, v52, 0x3aee, v15
	v_fmamk_f16 v39, v7, 0xbaee, v44
	v_fmac_f16_e32 v15, 0xbaee, v52
	v_fmac_f16_e32 v44, 0x3aee, v7
	v_pack_b32_f16 v7, v10, v40
	v_fmamk_f16 v10, v143, 0x3aee, v38
	v_fmac_f16_e32 v38, 0xbaee, v143
	v_fmamk_f16 v40, v11, 0xbaee, v49
	v_fmac_f16_e32 v49, 0x3aee, v11
	v_pack_b32_f16 v11, v29, v41
	v_fmamk_f16 v29, v150, 0x3aee, v37
	v_fmamk_f16 v41, v5, 0xbaee, v50
	v_fmac_f16_e32 v37, 0xbaee, v150
	v_fmac_f16_e32 v50, 0x3aee, v5
	v_pack_b32_f16 v5, v30, v42
	v_pack_b32_f16 v30, v32, v46
	v_fmamk_f16 v32, v152, 0x3aee, v33
	v_fmamk_f16 v42, v31, 0xbaee, v138
	;; [unrolled: 1-line block ×4, first 2 shown]
	v_fmac_f16_e32 v36, 0xbaee, v162
	v_fmac_f16_e32 v139, 0x3aee, v161
	v_add_f16_e32 v34, v159, v34
	v_add_f16_e32 v140, v163, v164
	v_fmac_f16_e32 v33, 0xbaee, v152
	v_fmac_f16_e32 v138, 0x3aee, v31
	v_pack_b32_f16 v9, v9, v39
	v_pack_b32_f16 v15, v15, v44
	;; [unrolled: 1-line block ×13, first 2 shown]
	ds_write2_b32 v131, v8, v9 offset1:48
	ds_write_b32 v131, v15 offset:384
	ds_write2_b32 v132, v7, v39 offset1:48
	ds_write_b32 v132, v16 offset:384
	;; [unrolled: 2-line block ×6, first 2 shown]
	s_waitcnt lgkmcnt(0)
	s_barrier
	buffer_gl0_inv
	ds_read2_b32 v[47:48], v4 offset0:32 offset1:88
	ds_read2_b32 v[45:46], v4 offset0:176 offset1:232
	;; [unrolled: 1-line block ×4, first 2 shown]
	ds_read2_b32 v[37:38], v60 offset1:56
	ds_read2_b32 v[51:52], v60 offset0:144 offset1:200
	ds_read2_b32 v[49:50], v6 offset0:80 offset1:136
                                        ; implicit-def: $vgpr143
                                        ; implicit-def: $vgpr142
                                        ; implicit-def: $vgpr145
                                        ; implicit-def: $vgpr144
                                        ; implicit-def: $vgpr40
	s_and_saveexec_b32 s0, vcc_lo
	s_cbranch_execz .LBB0_3
; %bb.2:
	v_add_nc_u32_e32 v0, 0x100, v60
	v_add_nc_u32_e32 v2, 0x600, v60
	ds_read2_b32 v[39:40], v6 offset0:48 offset1:192
	ds_read2_b32 v[33:34], v0 offset0:48 offset1:192
	;; [unrolled: 1-line block ×3, first 2 shown]
	ds_read_b32 v142, v60 offset:3904
	s_waitcnt lgkmcnt(3)
	v_lshrrev_b32_e32 v144, 16, v39
	v_lshrrev_b32_e32 v143, 16, v40
	s_waitcnt lgkmcnt(2)
	v_lshrrev_b32_e32 v138, 16, v33
	v_lshrrev_b32_e32 v140, 16, v34
	;; [unrolled: 3-line block ×3, first 2 shown]
	s_waitcnt lgkmcnt(0)
	v_lshrrev_b32_e32 v145, 16, v142
.LBB0_3:
	s_or_b32 exec_lo, exec_lo, s0
	v_subrev_nc_u32_e32 v0, 32, v71
	v_mad_u64_u32 v[2:3], null, v71, 24, s[14:15]
	v_lshlrev_b32_e32 v137, 2, v135
	v_lshlrev_b32_e32 v135, 2, v136
	v_cndmask_b32_e32 v0, v0, v1, vcc_lo
	s_waitcnt lgkmcnt(1)
	v_lshrrev_b32_e32 v136, 16, v51
	v_lshrrev_b32_e32 v146, 16, v47
	s_clause 0x3
	global_load_dwordx4 v[8:11], v[2:3], off offset:568
	global_load_dwordx2 v[31:32], v[2:3], off offset:584
	global_load_dwordx4 v[4:7], v[2:3], off offset:1912
	global_load_dwordx2 v[29:30], v[2:3], off offset:1928
	v_mul_i32_i24_e32 v1, 24, v0
	v_mul_hi_i32_i24_e32 v0, 24, v0
	v_lshrrev_b32_e32 v147, 16, v45
	v_lshrrev_b32_e32 v148, 16, v43
	s_waitcnt lgkmcnt(0)
	v_lshrrev_b32_e32 v149, 16, v49
	v_add_co_u32 v15, s0, s14, v1
	v_add_co_ci_u32_e64 v16, s0, s15, v0, s0
	v_lshrrev_b32_e32 v150, 16, v41
	v_lshrrev_b32_e32 v151, 16, v52
	;; [unrolled: 1-line block ×3, first 2 shown]
	s_clause 0x1
	global_load_dwordx4 v[0:3], v[15:16], off offset:568
	global_load_dwordx2 v[15:16], v[15:16], off offset:584
	v_lshrrev_b32_e32 v153, 16, v46
	v_lshrrev_b32_e32 v154, 16, v44
	;; [unrolled: 1-line block ×4, first 2 shown]
	s_waitcnt vmcnt(5)
	v_mul_f16_sdwa v157, v136, v8 dst_sel:DWORD dst_unused:UNUSED_PAD src0_sel:DWORD src1_sel:WORD_1
	v_mul_f16_sdwa v158, v51, v8 dst_sel:DWORD dst_unused:UNUSED_PAD src0_sel:DWORD src1_sel:WORD_1
	;; [unrolled: 1-line block ×8, first 2 shown]
	s_waitcnt vmcnt(4)
	v_mul_f16_sdwa v165, v149, v31 dst_sel:DWORD dst_unused:UNUSED_PAD src0_sel:DWORD src1_sel:WORD_1
	v_mul_f16_sdwa v166, v49, v31 dst_sel:DWORD dst_unused:UNUSED_PAD src0_sel:DWORD src1_sel:WORD_1
	;; [unrolled: 1-line block ×4, first 2 shown]
	s_waitcnt vmcnt(3)
	v_mul_f16_sdwa v169, v151, v4 dst_sel:DWORD dst_unused:UNUSED_PAD src0_sel:DWORD src1_sel:WORD_1
	v_mul_f16_sdwa v170, v52, v4 dst_sel:DWORD dst_unused:UNUSED_PAD src0_sel:DWORD src1_sel:WORD_1
	;; [unrolled: 1-line block ×8, first 2 shown]
	s_waitcnt vmcnt(2)
	v_mul_f16_sdwa v177, v155, v29 dst_sel:DWORD dst_unused:UNUSED_PAD src0_sel:DWORD src1_sel:WORD_1
	v_mul_f16_sdwa v178, v50, v29 dst_sel:DWORD dst_unused:UNUSED_PAD src0_sel:DWORD src1_sel:WORD_1
	;; [unrolled: 1-line block ×4, first 2 shown]
	v_fma_f16 v51, v51, v8, -v157
	v_fmac_f16_e32 v158, v136, v8
	v_fma_f16 v47, v47, v9, -v159
	v_fmac_f16_e32 v160, v146, v9
	;; [unrolled: 2-line block ×12, first 2 shown]
	v_add_f16_e32 v136, v51, v41
	v_add_f16_e32 v146, v158, v168
	v_sub_f16_e32 v41, v51, v41
	v_sub_f16_e32 v51, v158, v168
	v_add_f16_e32 v147, v47, v49
	v_add_f16_e32 v148, v160, v166
	v_sub_f16_e32 v47, v47, v49
	v_sub_f16_e32 v49, v160, v166
	;; [unrolled: 4-line block ×6, first 2 shown]
	s_waitcnt vmcnt(1)
	v_mul_f16_sdwa v157, v140, v0 dst_sel:DWORD dst_unused:UNUSED_PAD src0_sel:DWORD src1_sel:WORD_1
	v_mul_f16_sdwa v158, v34, v0 dst_sel:DWORD dst_unused:UNUSED_PAD src0_sel:DWORD src1_sel:WORD_1
	;; [unrolled: 1-line block ×5, first 2 shown]
	s_waitcnt vmcnt(0)
	v_mul_f16_sdwa v165, v143, v15 dst_sel:DWORD dst_unused:UNUSED_PAD src0_sel:DWORD src1_sel:WORD_1
	v_mul_f16_sdwa v166, v40, v15 dst_sel:DWORD dst_unused:UNUSED_PAD src0_sel:DWORD src1_sel:WORD_1
	;; [unrolled: 1-line block ×7, first 2 shown]
	v_add_f16_e32 v169, v147, v136
	v_add_f16_e32 v170, v148, v146
	v_sub_f16_e32 v171, v147, v136
	v_sub_f16_e32 v172, v148, v146
	;; [unrolled: 1-line block ×5, first 2 shown]
	v_add_f16_e32 v173, v43, v47
	v_add_f16_e32 v174, v45, v49
	v_sub_f16_e32 v175, v43, v47
	v_sub_f16_e32 v176, v45, v49
	;; [unrolled: 1-line block ×4, first 2 shown]
	v_add_f16_e32 v177, v153, v151
	v_add_f16_e32 v178, v154, v152
	v_sub_f16_e32 v179, v153, v151
	v_sub_f16_e32 v180, v154, v152
	;; [unrolled: 1-line block ×6, first 2 shown]
	v_add_f16_e32 v181, v44, v48
	v_add_f16_e32 v182, v46, v50
	v_sub_f16_e32 v183, v44, v48
	v_sub_f16_e32 v184, v46, v50
	;; [unrolled: 1-line block ×4, first 2 shown]
	v_fma_f16 v34, v34, v0, -v157
	v_fmac_f16_e32 v158, v140, v0
	v_fma_f16 v35, v35, v1, -v159
	v_fmac_f16_e32 v160, v141, v1
	v_fmac_f16_e32 v162, v139, v2
	v_fma_f16 v40, v40, v15, -v165
	v_fmac_f16_e32 v166, v143, v15
	v_fma_f16 v139, v142, v16, -v167
	v_fmac_f16_e32 v168, v145, v16
	v_sub_f16_e32 v148, v150, v148
	v_sub_f16_e32 v43, v41, v43
	;; [unrolled: 1-line block ×5, first 2 shown]
	v_fma_f16 v36, v36, v2, -v161
	v_fma_f16 v39, v39, v3, -v163
	v_fmac_f16_e32 v164, v144, v3
	v_add_f16_e32 v140, v149, v169
	v_add_f16_e32 v141, v150, v170
	v_mul_f16_e32 v136, 0x3a52, v136
	v_mul_f16_e32 v142, 0x3a52, v146
	;; [unrolled: 1-line block ×7, first 2 shown]
	v_add_f16_e32 v155, v155, v177
	v_add_f16_e32 v156, v156, v178
	v_mul_f16_e32 v151, 0x3a52, v151
	v_mul_f16_e32 v152, 0x3a52, v152
	;; [unrolled: 1-line block ×8, first 2 shown]
	v_add_f16_e32 v169, v34, v139
	v_add_f16_e32 v170, v158, v168
	v_sub_f16_e32 v34, v34, v139
	v_sub_f16_e32 v139, v158, v168
	v_add_f16_e32 v158, v35, v40
	v_add_f16_e32 v168, v160, v166
	;; [unrolled: 1-line block ×4, first 2 shown]
	v_mul_f16_e32 v144, 0x2b26, v148
	v_add_f16_e32 v52, v182, v52
	v_sub_f16_e32 v35, v35, v40
	v_sub_f16_e32 v40, v160, v166
	v_add_f16_e32 v160, v36, v39
	v_add_f16_e32 v166, v162, v164
	v_sub_f16_e32 v36, v39, v36
	v_sub_f16_e32 v39, v164, v162
	v_add_f16_e32 v162, v37, v140
	v_add_f16_sdwa v37, v37, v141 dst_sel:DWORD dst_unused:UNUSED_PAD src0_sel:WORD_1 src1_sel:DWORD
	v_fmamk_f16 v147, v147, 0x2b26, v136
	v_fma_f16 v143, v171, 0x39e0, -v143
	v_fma_f16 v136, v171, 0xb9e0, -v136
	v_fmamk_f16 v164, v43, 0x3574, v145
	v_fmamk_f16 v171, v45, 0x3574, v146
	v_fma_f16 v47, v47, 0x3b00, -v145
	v_fma_f16 v49, v49, 0x3b00, -v146
	;; [unrolled: 1-line block ×4, first 2 shown]
	v_add_f16_e32 v43, v38, v155
	v_add_f16_sdwa v38, v38, v156 dst_sel:DWORD dst_unused:UNUSED_PAD src0_sel:WORD_1 src1_sel:DWORD
	v_fmamk_f16 v45, v153, 0x2b26, v151
	v_fmamk_f16 v149, v154, 0x2b26, v152
	v_fma_f16 v150, v179, 0x39e0, -v157
	v_fma_f16 v153, v180, 0x39e0, -v159
	v_fmamk_f16 v154, v44, 0x3574, v161
	v_fmamk_f16 v157, v46, 0x3574, v163
	v_fma_f16 v48, v48, 0x3b00, -v161
	v_fma_f16 v50, v50, 0x3b00, -v163
	;; [unrolled: 1-line block ×4, first 2 shown]
	v_add_f16_e32 v44, v158, v169
	v_add_f16_e32 v46, v168, v170
	;; [unrolled: 1-line block ×3, first 2 shown]
	v_fmamk_f16 v148, v148, 0x2b26, v142
	v_fma_f16 v144, v172, 0x39e0, -v144
	v_fma_f16 v142, v172, 0xb9e0, -v142
	;; [unrolled: 1-line block ×4, first 2 shown]
	v_sub_f16_e32 v163, v158, v169
	v_sub_f16_e32 v165, v168, v170
	;; [unrolled: 1-line block ×6, first 2 shown]
	v_add_f16_e32 v170, v36, v35
	v_add_f16_e32 v172, v39, v40
	v_sub_f16_e32 v173, v36, v35
	v_sub_f16_e32 v174, v39, v40
	;; [unrolled: 1-line block ×5, first 2 shown]
	v_fmamk_f16 v35, v140, 0xbcab, v162
	v_fmamk_f16 v36, v141, 0xbcab, v37
	v_fmac_f16_e32 v164, 0x370e, v41
	v_fmac_f16_e32 v171, 0x370e, v51
	;; [unrolled: 1-line block ×6, first 2 shown]
	v_fmamk_f16 v41, v155, 0xbcab, v43
	v_fmamk_f16 v51, v156, 0xbcab, v38
	v_fmac_f16_e32 v157, 0x370e, v52
	v_fmac_f16_e32 v50, 0x370e, v52
	;; [unrolled: 1-line block ×3, first 2 shown]
	v_add_f16_e32 v52, v160, v44
	v_add_f16_e32 v141, v166, v46
	v_sub_f16_e32 v39, v139, v39
	v_fmac_f16_e32 v154, 0x370e, v42
	v_fmac_f16_e32 v48, 0x370e, v42
	;; [unrolled: 1-line block ×3, first 2 shown]
	v_pack_b32_f16 v42, v162, v37
	v_pack_b32_f16 v140, v43, v38
	v_mul_f16_e32 v37, 0x3a52, v167
	v_mul_f16_e32 v38, 0x3a52, v169
	;; [unrolled: 1-line block ×8, first 2 shown]
	v_add_f16_e32 v147, v147, v35
	v_add_f16_e32 v148, v148, v36
	;; [unrolled: 1-line block ×16, first 2 shown]
	v_fmamk_f16 v33, v158, 0x2b26, v37
	v_fmamk_f16 v138, v168, 0x2b26, v38
	v_fma_f16 v151, v163, 0x39e0, -v43
	v_fma_f16 v152, v165, 0x39e0, -v44
	;; [unrolled: 1-line block ×4, first 2 shown]
	v_fmamk_f16 v38, v175, 0x3574, v46
	v_fmamk_f16 v43, v39, 0x3574, v155
	v_fma_f16 v46, v176, 0x3b00, -v46
	v_fma_f16 v37, v40, 0x3b00, -v155
	;; [unrolled: 1-line block ×4, first 2 shown]
	v_add_f16_e32 v39, v171, v147
	v_sub_f16_e32 v40, v148, v164
	v_add_f16_e32 v155, v146, v136
	v_sub_f16_e32 v156, v142, v145
	v_sub_f16_e32 v160, v143, v49
	v_add_f16_e32 v165, v47, v144
	v_add_f16_e32 v49, v49, v143
	v_sub_f16_e32 v47, v144, v47
	v_sub_f16_e32 v136, v136, v146
	v_add_f16_e32 v142, v145, v142
	v_sub_f16_e32 v143, v147, v171
	v_add_f16_e32 v144, v164, v148
	v_add_f16_e32 v145, v157, v162
	v_sub_f16_e32 v146, v149, v154
	v_add_f16_e32 v147, v161, v41
	v_sub_f16_e32 v148, v51, v159
	v_sub_f16_e32 v164, v150, v50
	v_add_f16_e32 v166, v48, v153
	v_add_f16_e32 v50, v50, v150
	v_sub_f16_e32 v48, v153, v48
	v_sub_f16_e32 v41, v41, v161
	v_add_f16_e32 v51, v159, v51
	v_fmamk_f16 v153, v52, 0xbcab, v35
	v_fmamk_f16 v141, v141, 0xbcab, v36
	v_fmac_f16_e32 v38, 0x370e, v34
	v_fmac_f16_e32 v43, 0x370e, v139
	v_fmac_f16_e32 v46, 0x370e, v34
	v_fmac_f16_e32 v37, 0x370e, v139
	v_fmac_f16_e32 v44, 0x370e, v34
	v_fmac_f16_e32 v45, 0x370e, v139
	v_pack_b32_f16 v34, v39, v40
	v_pack_b32_f16 v139, v49, v47
	;; [unrolled: 1-line block ×8, first 2 shown]
	v_add_f16_e32 v48, v33, v153
	v_add_f16_e32 v49, v138, v141
	;; [unrolled: 1-line block ×6, first 2 shown]
	v_pack_b32_f16 v39, v155, v156
	v_pack_b32_f16 v40, v160, v165
	v_sub_f16_e32 v150, v162, v157
	v_add_f16_e32 v149, v154, v149
	ds_write_b32 v60, v34 offset:576
	ds_write_b32 v60, v39 offset:1152
	;; [unrolled: 1-line block ×6, first 2 shown]
	ds_write2_b32 v60, v42, v140 offset1:56
	ds_write_b32 v60, v143 offset:800
	v_add_f16_e32 v33, v37, v47
	v_sub_f16_e32 v39, v52, v46
	v_sub_f16_e32 v34, v50, v45
	v_add_f16_e32 v40, v44, v51
	v_sub_f16_e32 v41, v48, v43
	v_add_f16_e32 v42, v38, v49
	v_pack_b32_f16 v145, v164, v166
	v_pack_b32_f16 v148, v150, v149
	ds_write_b32 v60, v144 offset:1376
	ds_write_b32 v60, v145 offset:1952
	ds_write_b32 v60, v146 offset:2528
	ds_write_b32 v60, v147 offset:3104
	ds_write_b32 v60, v148 offset:3680
	s_and_saveexec_b32 s0, vcc_lo
	s_cbranch_execz .LBB0_5
; %bb.4:
	v_sub_f16_e32 v38, v49, v38
	v_add_f16_e32 v43, v43, v48
	v_add_f16_e32 v46, v46, v52
	v_sub_f16_e32 v44, v51, v44
	v_add_f16_e32 v45, v45, v50
	v_sub_f16_e32 v37, v47, v37
	v_perm_b32 v35, v36, v35, 0x5040100
	v_pack_b32_f16 v36, v43, v38
	v_add_nc_u32_e32 v38, 0x100, v60
	v_pack_b32_f16 v43, v45, v44
	v_pack_b32_f16 v37, v37, v46
	v_add_nc_u32_e32 v44, 0x600, v60
	v_perm_b32 v45, v39, v33, 0x5040100
	v_perm_b32 v46, v40, v34, 0x5040100
	v_add_nc_u32_e32 v47, 0xa00, v60
	v_perm_b32 v48, v42, v41, 0x5040100
	ds_write2_b32 v38, v35, v36 offset0:48 offset1:192
	ds_write2_b32 v44, v43, v37 offset0:16 offset1:160
	;; [unrolled: 1-line block ×3, first 2 shown]
	ds_write_b32 v60, v48 offset:3904
.LBB0_5:
	s_or_b32 exec_lo, exec_lo, s0
	v_lshlrev_b32_e32 v37, 2, v71
	s_add_u32 s4, s12, 0xfc0
	s_addc_u32 s5, s13, 0
	s_waitcnt lgkmcnt(0)
	s_barrier
	buffer_gl0_inv
	s_clause 0x1
	global_load_dword v38, v37, s[4:5]
	global_load_dword v43, v37, s[4:5] offset:224
	v_add_co_u32 v35, s0, s4, v37
	v_add_co_ci_u32_e64 v36, null, s5, 0, s0
	v_add_nc_u32_e32 v46, 0xc00, v60
	v_add_co_u32 v35, s0, 0x800, v35
	v_add_co_ci_u32_e64 v36, s0, 0, v36, s0
	s_clause 0xf
	global_load_dword v136, v37, s[4:5] offset:2016
	global_load_dword v146, v[35:36], off offset:192
	global_load_dword v147, v37, s[4:5] offset:448
	global_load_dword v148, v[35:36], off offset:416
	;; [unrolled: 2-line block ×6, first 2 shown]
	global_load_dword v157, v37, s[4:5] offset:1568
	global_load_dword v75, v75, s[4:5]
	global_load_dword v158, v37, s[4:5] offset:1792
	global_load_dword v159, v[35:36], off offset:1760
	ds_read2_b32 v[36:37], v60 offset1:56
	s_waitcnt lgkmcnt(0)
	v_lshrrev_b32_e32 v35, 16, v36
	s_waitcnt vmcnt(17)
	v_mul_f16_sdwa v44, v35, v38 dst_sel:DWORD dst_unused:UNUSED_PAD src0_sel:DWORD src1_sel:WORD_1
	v_mul_f16_sdwa v45, v36, v38 dst_sel:DWORD dst_unused:UNUSED_PAD src0_sel:DWORD src1_sel:WORD_1
	s_waitcnt vmcnt(16)
	v_mul_f16_sdwa v140, v37, v43 dst_sel:DWORD dst_unused:UNUSED_PAD src0_sel:DWORD src1_sel:WORD_1
	v_fma_f16 v36, v36, v38, -v44
	v_fmac_f16_e32 v45, v35, v38
	v_lshrrev_b32_e32 v44, 16, v37
	v_add_nc_u32_e32 v35, 0x400, v60
	v_pack_b32_f16 v36, v36, v45
	v_mul_f16_sdwa v38, v44, v43 dst_sel:DWORD dst_unused:UNUSED_PAD src0_sel:DWORD src1_sel:WORD_1
	v_add_nc_u32_e32 v45, 0x800, v60
	v_fmac_f16_e32 v140, v44, v43
	v_add_nc_u32_e32 v44, 0x600, v60
	ds_write_b32 v60, v36
	v_add_nc_u32_e32 v36, 0x200, v60
	v_fma_f16 v141, v37, v43, -v38
	ds_read2_b32 v[47:48], v35 offset0:192 offset1:248
	ds_read2_b32 v[49:50], v45 offset0:48 offset1:104
	;; [unrolled: 1-line block ×5, first 2 shown]
	v_pack_b32_f16 v160, v141, v140
	ds_read2_b32 v[140:141], v46 offset0:16 offset1:72
	ds_read2_b32 v[142:143], v35 offset0:80 offset1:136
	;; [unrolled: 1-line block ×3, first 2 shown]
	v_add_nc_u32_e32 v43, 0xa00, v60
	s_waitcnt lgkmcnt(7)
	v_lshrrev_b32_e32 v161, 16, v48
	s_waitcnt vmcnt(15)
	v_mul_f16_sdwa v162, v48, v136 dst_sel:DWORD dst_unused:UNUSED_PAD src0_sel:DWORD src1_sel:WORD_1
	s_waitcnt lgkmcnt(6)
	v_lshrrev_b32_e32 v163, 16, v49
	s_waitcnt vmcnt(14)
	v_mul_f16_sdwa v164, v49, v146 dst_sel:DWORD dst_unused:UNUSED_PAD src0_sel:DWORD src1_sel:WORD_1
	s_waitcnt lgkmcnt(5)
	v_lshrrev_b32_e32 v165, 16, v51
	s_waitcnt vmcnt(13)
	v_mul_f16_sdwa v166, v51, v147 dst_sel:DWORD dst_unused:UNUSED_PAD src0_sel:DWORD src1_sel:WORD_1
	v_lshrrev_b32_e32 v167, 16, v50
	s_waitcnt vmcnt(12)
	v_mul_f16_sdwa v168, v50, v148 dst_sel:DWORD dst_unused:UNUSED_PAD src0_sel:DWORD src1_sel:WORD_1
	v_lshrrev_b32_e32 v169, 16, v52
	s_waitcnt vmcnt(11)
	v_mul_f16_sdwa v170, v52, v149 dst_sel:DWORD dst_unused:UNUSED_PAD src0_sel:DWORD src1_sel:WORD_1
	s_waitcnt lgkmcnt(4)
	v_lshrrev_b32_e32 v171, 16, v37
	s_waitcnt vmcnt(10)
	v_mul_f16_sdwa v172, v37, v150 dst_sel:DWORD dst_unused:UNUSED_PAD src0_sel:DWORD src1_sel:WORD_1
	s_waitcnt lgkmcnt(3)
	v_lshrrev_b32_e32 v173, 16, v138
	s_waitcnt vmcnt(9)
	v_mul_f16_sdwa v174, v138, v151 dst_sel:DWORD dst_unused:UNUSED_PAD src0_sel:DWORD src1_sel:WORD_1
	v_lshrrev_b32_e32 v175, 16, v38
	s_waitcnt vmcnt(8)
	v_mul_f16_sdwa v176, v38, v152 dst_sel:DWORD dst_unused:UNUSED_PAD src0_sel:DWORD src1_sel:WORD_1
	v_lshrrev_b32_e32 v177, 16, v139
	s_waitcnt vmcnt(7)
	v_mul_f16_sdwa v178, v139, v153 dst_sel:DWORD dst_unused:UNUSED_PAD src0_sel:DWORD src1_sel:WORD_1
	s_waitcnt lgkmcnt(2)
	v_lshrrev_b32_e32 v179, 16, v140
	s_waitcnt vmcnt(6)
	v_mul_f16_sdwa v180, v140, v154 dst_sel:DWORD dst_unused:UNUSED_PAD src0_sel:DWORD src1_sel:WORD_1
	s_waitcnt lgkmcnt(1)
	v_lshrrev_b32_e32 v181, 16, v142
	s_waitcnt vmcnt(5)
	v_mul_f16_sdwa v182, v142, v155 dst_sel:DWORD dst_unused:UNUSED_PAD src0_sel:DWORD src1_sel:WORD_1
	v_lshrrev_b32_e32 v183, 16, v141
	s_waitcnt vmcnt(4)
	v_mul_f16_sdwa v184, v141, v156 dst_sel:DWORD dst_unused:UNUSED_PAD src0_sel:DWORD src1_sel:WORD_1
	;; [unrolled: 3-line block ×3, first 2 shown]
	s_waitcnt lgkmcnt(0)
	v_lshrrev_b32_e32 v187, 16, v144
	s_waitcnt vmcnt(2)
	v_mul_f16_sdwa v188, v144, v75 dst_sel:DWORD dst_unused:UNUSED_PAD src0_sel:DWORD src1_sel:WORD_1
	v_lshrrev_b32_e32 v189, 16, v47
	s_waitcnt vmcnt(1)
	v_mul_f16_sdwa v190, v47, v158 dst_sel:DWORD dst_unused:UNUSED_PAD src0_sel:DWORD src1_sel:WORD_1
	v_lshrrev_b32_e32 v191, 16, v145
	v_mul_f16_sdwa v193, v161, v136 dst_sel:DWORD dst_unused:UNUSED_PAD src0_sel:DWORD src1_sel:WORD_1
	v_fmac_f16_e32 v162, v161, v136
	v_mul_f16_sdwa v161, v163, v146 dst_sel:DWORD dst_unused:UNUSED_PAD src0_sel:DWORD src1_sel:WORD_1
	v_fmac_f16_e32 v164, v163, v146
	;; [unrolled: 2-line block ×6, first 2 shown]
	v_mul_f16_sdwa v171, v173, v151 dst_sel:DWORD dst_unused:UNUSED_PAD src0_sel:DWORD src1_sel:WORD_1
	s_waitcnt vmcnt(0)
	v_mul_f16_sdwa v192, v145, v159 dst_sel:DWORD dst_unused:UNUSED_PAD src0_sel:DWORD src1_sel:WORD_1
	v_fmac_f16_e32 v174, v173, v151
	v_mul_f16_sdwa v173, v175, v152 dst_sel:DWORD dst_unused:UNUSED_PAD src0_sel:DWORD src1_sel:WORD_1
	v_fmac_f16_e32 v176, v175, v152
	;; [unrolled: 2-line block ×9, first 2 shown]
	v_mul_f16_sdwa v189, v191, v159 dst_sel:DWORD dst_unused:UNUSED_PAD src0_sel:DWORD src1_sel:WORD_1
	v_fma_f16 v48, v48, v136, -v193
	v_fma_f16 v49, v49, v146, -v161
	;; [unrolled: 1-line block ×7, first 2 shown]
	v_fmac_f16_e32 v192, v191, v159
	v_fma_f16 v38, v38, v152, -v173
	v_fma_f16 v138, v139, v153, -v175
	;; [unrolled: 1-line block ×9, first 2 shown]
	v_pack_b32_f16 v48, v48, v162
	v_pack_b32_f16 v49, v49, v164
	;; [unrolled: 1-line block ×16, first 2 shown]
	ds_write2_b32 v44, v48, v49 offset0:120 offset1:176
	ds_write2_b32 v60, v160, v51 offset0:56 offset1:112
	;; [unrolled: 1-line block ×8, first 2 shown]
	ds_write_b32 v60, v143 offset:3808
	s_waitcnt lgkmcnt(0)
	s_barrier
	buffer_gl0_inv
	ds_read2_b32 v[37:38], v60 offset1:56
	ds_read2_b32 v[47:48], v35 offset0:192 offset1:248
	ds_read2_b32 v[49:50], v45 offset0:48 offset1:104
	;; [unrolled: 1-line block ×8, first 2 shown]
	s_waitcnt lgkmcnt(0)
	s_barrier
	buffer_gl0_inv
	v_pk_add_f16 v148, v37, v48 neg_lo:[0,1] neg_hi:[0,1]
	v_pk_add_f16 v49, v38, v49 neg_lo:[0,1] neg_hi:[0,1]
	v_pk_add_f16 v150, v51, v50 neg_lo:[0,1] neg_hi:[0,1]
	v_pk_add_f16 v152, v52, v138 neg_lo:[0,1] neg_hi:[0,1]
	v_pk_add_f16 v139, v140, v139 neg_lo:[0,1] neg_hi:[0,1]
	v_pk_add_f16 v142, v141, v142 neg_lo:[0,1] neg_hi:[0,1]
	v_pk_add_f16 v154, v144, v143 neg_lo:[0,1] neg_hi:[0,1]
	v_pk_add_f16 v146, v145, v146 neg_lo:[0,1] neg_hi:[0,1]
	v_pk_add_f16 v156, v47, v147 neg_lo:[0,1] neg_hi:[0,1]
	v_pk_fma_f16 v147, v37, 2.0, v148 op_sel_hi:[1,0,1] neg_lo:[0,0,1] neg_hi:[0,0,1]
	v_pk_fma_f16 v48, v38, 2.0, v49 op_sel_hi:[1,0,1] neg_lo:[0,0,1] neg_hi:[0,0,1]
	;; [unrolled: 1-line block ×9, first 2 shown]
	ds_write_b64 v76, v[147:148]
	ds_write_b64 v82, v[48:49]
	;; [unrolled: 1-line block ×9, first 2 shown]
	s_waitcnt lgkmcnt(0)
	s_barrier
	buffer_gl0_inv
	ds_read2_b32 v[37:38], v60 offset1:56
	ds_read2_b32 v[47:48], v35 offset0:192 offset1:248
	ds_read2_b32 v[49:50], v45 offset0:48 offset1:104
	;; [unrolled: 1-line block ×8, first 2 shown]
	s_waitcnt lgkmcnt(0)
	s_barrier
	buffer_gl0_inv
	v_lshrrev_b32_e32 v137, 16, v37
	v_lshrrev_b32_e32 v138, 16, v48
	;; [unrolled: 1-line block ×3, first 2 shown]
	v_mul_f16_sdwa v155, v77, v48 dst_sel:DWORD dst_unused:UNUSED_PAD src0_sel:WORD_1 src1_sel:DWORD
	v_lshrrev_b32_e32 v142, 16, v50
	v_mul_f16_sdwa v156, v77, v49 dst_sel:DWORD dst_unused:UNUSED_PAD src0_sel:WORD_1 src1_sel:DWORD
	v_lshrrev_b32_e32 v144, 16, v75
	;; [unrolled: 2-line block ×3, first 2 shown]
	v_lshrrev_b32_e32 v148, 16, v80
	v_lshrrev_b32_e32 v150, 16, v81
	;; [unrolled: 1-line block ×4, first 2 shown]
	v_mul_f16_sdwa v158, v77, v75 dst_sel:DWORD dst_unused:UNUSED_PAD src0_sel:WORD_1 src1_sel:DWORD
	v_mul_f16_sdwa v159, v77, v76 dst_sel:DWORD dst_unused:UNUSED_PAD src0_sel:WORD_1 src1_sel:DWORD
	;; [unrolled: 1-line block ×6, first 2 shown]
	v_fma_f16 v138, v77, v138, -v155
	v_mul_f16_sdwa v155, v77, v140 dst_sel:DWORD dst_unused:UNUSED_PAD src0_sel:WORD_1 src1_sel:DWORD
	v_fma_f16 v140, v77, v140, -v156
	v_mul_f16_sdwa v156, v77, v142 dst_sel:DWORD dst_unused:UNUSED_PAD src0_sel:WORD_1 src1_sel:DWORD
	;; [unrolled: 2-line block ×3, first 2 shown]
	v_mul_f16_sdwa v163, v77, v136 dst_sel:DWORD dst_unused:UNUSED_PAD src0_sel:WORD_1 src1_sel:DWORD
	v_fma_f16 v144, v77, v144, -v158
	v_mul_f16_sdwa v158, v77, v146 dst_sel:DWORD dst_unused:UNUSED_PAD src0_sel:WORD_1 src1_sel:DWORD
	v_fma_f16 v146, v77, v146, -v159
	;; [unrolled: 2-line block ×5, first 2 shown]
	v_mul_f16_sdwa v162, v77, v154 dst_sel:DWORD dst_unused:UNUSED_PAD src0_sel:WORD_1 src1_sel:DWORD
	v_fmac_f16_e32 v164, v77, v48
	v_lshrrev_b32_e32 v139, 16, v38
	v_fmac_f16_e32 v155, v77, v49
	v_lshrrev_b32_e32 v141, 16, v51
	;; [unrolled: 2-line block ×4, first 2 shown]
	v_lshrrev_b32_e32 v147, 16, v79
	v_lshrrev_b32_e32 v149, 16, v82
	;; [unrolled: 1-line block ×4, first 2 shown]
	v_fma_f16 v154, v77, v154, -v163
	v_fmac_f16_e32 v158, v77, v76
	v_fmac_f16_e32 v159, v77, v80
	;; [unrolled: 1-line block ×5, first 2 shown]
	v_sub_f16_e32 v48, v137, v138
	v_sub_f16_e32 v136, v37, v164
	;; [unrolled: 1-line block ×17, first 2 shown]
	v_fma_f16 v137, v137, 2.0, -v48
	v_sub_f16_e32 v150, v83, v161
	v_fma_f16 v37, v37, 2.0, -v136
	v_fma_f16 v139, v139, 2.0, -v49
	;; [unrolled: 1-line block ×17, first 2 shown]
	v_pack_b32_f16 v48, v136, v48
	v_pack_b32_f16 v37, v37, v137
	;; [unrolled: 1-line block ×18, first 2 shown]
	ds_write2_b32 v85, v37, v48 offset1:2
	ds_write2_b32 v86, v38, v49 offset1:2
	;; [unrolled: 1-line block ×9, first 2 shown]
	s_waitcnt lgkmcnt(0)
	s_barrier
	buffer_gl0_inv
	ds_read2_b32 v[37:38], v60 offset1:56
	ds_read2_b32 v[47:48], v35 offset0:192 offset1:248
	ds_read2_b32 v[49:50], v45 offset0:48 offset1:104
	;; [unrolled: 1-line block ×8, first 2 shown]
	s_waitcnt lgkmcnt(0)
	s_barrier
	buffer_gl0_inv
	v_lshrrev_b32_e32 v83, 16, v37
	v_lshrrev_b32_e32 v87, 16, v48
	;; [unrolled: 1-line block ×3, first 2 shown]
	v_mul_f16_sdwa v145, v84, v48 dst_sel:DWORD dst_unused:UNUSED_PAD src0_sel:WORD_1 src1_sel:DWORD
	v_lshrrev_b32_e32 v91, 16, v50
	v_mul_f16_sdwa v146, v84, v49 dst_sel:DWORD dst_unused:UNUSED_PAD src0_sel:WORD_1 src1_sel:DWORD
	v_lshrrev_b32_e32 v93, 16, v75
	;; [unrolled: 2-line block ×3, first 2 shown]
	v_lshrrev_b32_e32 v138, 16, v79
	v_lshrrev_b32_e32 v140, 16, v80
	;; [unrolled: 1-line block ×4, first 2 shown]
	v_mul_f16_sdwa v148, v84, v75 dst_sel:DWORD dst_unused:UNUSED_PAD src0_sel:WORD_1 src1_sel:DWORD
	v_mul_f16_sdwa v149, v84, v76 dst_sel:DWORD dst_unused:UNUSED_PAD src0_sel:WORD_1 src1_sel:DWORD
	;; [unrolled: 1-line block ×6, first 2 shown]
	v_fma_f16 v87, v84, v87, -v145
	v_mul_f16_sdwa v145, v84, v89 dst_sel:DWORD dst_unused:UNUSED_PAD src0_sel:WORD_1 src1_sel:DWORD
	v_fma_f16 v89, v84, v89, -v146
	v_mul_f16_sdwa v146, v84, v91 dst_sel:DWORD dst_unused:UNUSED_PAD src0_sel:WORD_1 src1_sel:DWORD
	;; [unrolled: 2-line block ×3, first 2 shown]
	v_mul_f16_sdwa v153, v84, v86 dst_sel:DWORD dst_unused:UNUSED_PAD src0_sel:WORD_1 src1_sel:DWORD
	v_fma_f16 v93, v84, v93, -v148
	v_mul_f16_sdwa v148, v84, v136 dst_sel:DWORD dst_unused:UNUSED_PAD src0_sel:WORD_1 src1_sel:DWORD
	v_fma_f16 v136, v84, v136, -v149
	;; [unrolled: 2-line block ×5, first 2 shown]
	v_mul_f16_sdwa v152, v84, v144 dst_sel:DWORD dst_unused:UNUSED_PAD src0_sel:WORD_1 src1_sel:DWORD
	v_fmac_f16_e32 v154, v84, v48
	v_lshrrev_b32_e32 v88, 16, v38
	v_fmac_f16_e32 v145, v84, v49
	v_lshrrev_b32_e32 v90, 16, v51
	v_fmac_f16_e32 v146, v84, v50
	v_lshrrev_b32_e32 v92, 16, v52
	v_fmac_f16_e32 v147, v84, v75
	v_lshrrev_b32_e32 v135, 16, v77
	v_lshrrev_b32_e32 v137, 16, v78
	v_lshrrev_b32_e32 v139, 16, v81
	;; [unrolled: 1-line block ×4, first 2 shown]
	v_fma_f16 v144, v84, v144, -v153
	v_fmac_f16_e32 v148, v84, v76
	v_fmac_f16_e32 v149, v84, v79
	;; [unrolled: 1-line block ×5, first 2 shown]
	v_sub_f16_e32 v48, v83, v87
	v_sub_f16_e32 v86, v37, v154
	;; [unrolled: 1-line block ×18, first 2 shown]
	v_fma_f16 v83, v83, 2.0, -v48
	v_fma_f16 v37, v37, 2.0, -v86
	v_fma_f16 v88, v88, 2.0, -v49
	v_fma_f16 v38, v38, 2.0, -v87
	v_fma_f16 v90, v90, 2.0, -v50
	v_fma_f16 v51, v51, 2.0, -v89
	v_fma_f16 v92, v92, 2.0, -v75
	v_fma_f16 v52, v52, 2.0, -v91
	v_fma_f16 v135, v135, 2.0, -v76
	v_fma_f16 v137, v137, 2.0, -v79
	v_fma_f16 v139, v139, 2.0, -v80
	v_fma_f16 v141, v141, 2.0, -v84
	v_fma_f16 v143, v143, 2.0, -v85
	v_fma_f16 v77, v77, 2.0, -v93
	v_fma_f16 v78, v78, 2.0, -v136
	v_fma_f16 v81, v81, 2.0, -v138
	v_fma_f16 v82, v82, 2.0, -v140
	v_fma_f16 v47, v47, 2.0, -v142
	v_pack_b32_f16 v48, v86, v48
	v_pack_b32_f16 v37, v37, v83
	;; [unrolled: 1-line block ×18, first 2 shown]
	ds_write2_b32 v94, v37, v48 offset1:4
	ds_write2_b32 v95, v38, v49 offset1:4
	;; [unrolled: 1-line block ×9, first 2 shown]
	s_waitcnt lgkmcnt(0)
	s_barrier
	buffer_gl0_inv
	ds_read2_b32 v[37:38], v60 offset1:56
	ds_read2_b32 v[47:48], v35 offset0:192 offset1:248
	ds_read2_b32 v[49:50], v45 offset0:48 offset1:104
	;; [unrolled: 1-line block ×8, first 2 shown]
	s_waitcnt lgkmcnt(0)
	s_barrier
	buffer_gl0_inv
	v_lshrrev_b32_e32 v85, 16, v37
	v_lshrrev_b32_e32 v86, 16, v48
	;; [unrolled: 1-line block ×3, first 2 shown]
	v_mul_f16_sdwa v135, v101, v48 dst_sel:DWORD dst_unused:UNUSED_PAD src0_sel:WORD_1 src1_sel:DWORD
	v_lshrrev_b32_e32 v90, 16, v50
	v_lshrrev_b32_e32 v92, 16, v75
	v_mul_f16_sdwa v136, v101, v49 dst_sel:DWORD dst_unused:UNUSED_PAD src0_sel:WORD_1 src1_sel:DWORD
	v_mul_f16_sdwa v137, v101, v50 dst_sel:DWORD dst_unused:UNUSED_PAD src0_sel:WORD_1 src1_sel:DWORD
	v_mul_f16_sdwa v138, v101, v75 dst_sel:DWORD dst_unused:UNUSED_PAD src0_sel:WORD_1 src1_sel:DWORD
	v_lshrrev_b32_e32 v94, 16, v76
	v_mul_f16_sdwa v144, v101, v86 dst_sel:DWORD dst_unused:UNUSED_PAD src0_sel:WORD_1 src1_sel:DWORD
	v_lshrrev_b32_e32 v96, 16, v79
	v_lshrrev_b32_e32 v98, 16, v80
	v_mul_f16_sdwa v139, v101, v76 dst_sel:DWORD dst_unused:UNUSED_PAD src0_sel:WORD_1 src1_sel:DWORD
	v_mul_f16_sdwa v140, v101, v79 dst_sel:DWORD dst_unused:UNUSED_PAD src0_sel:WORD_1 src1_sel:DWORD
	v_fma_f16 v86, v101, v86, -v135
	v_mul_f16_sdwa v135, v101, v88 dst_sel:DWORD dst_unused:UNUSED_PAD src0_sel:WORD_1 src1_sel:DWORD
	v_lshrrev_b32_e32 v91, 16, v52
	v_lshrrev_b32_e32 v100, 16, v83
	;; [unrolled: 1-line block ×3, first 2 shown]
	v_mul_f16_sdwa v141, v101, v80 dst_sel:DWORD dst_unused:UNUSED_PAD src0_sel:WORD_1 src1_sel:DWORD
	v_mul_f16_sdwa v142, v101, v83 dst_sel:DWORD dst_unused:UNUSED_PAD src0_sel:WORD_1 src1_sel:DWORD
	v_fma_f16 v88, v101, v88, -v136
	v_mul_f16_sdwa v136, v101, v90 dst_sel:DWORD dst_unused:UNUSED_PAD src0_sel:WORD_1 src1_sel:DWORD
	v_fma_f16 v90, v101, v90, -v137
	;; [unrolled: 2-line block ×3, first 2 shown]
	v_lshrrev_b32_e32 v87, 16, v38
	v_lshrrev_b32_e32 v89, 16, v51
	v_mul_f16_sdwa v138, v101, v94 dst_sel:DWORD dst_unused:UNUSED_PAD src0_sel:WORD_1 src1_sel:DWORD
	v_fmac_f16_e32 v144, v101, v48
	v_fma_f16 v94, v101, v94, -v139
	v_mul_f16_sdwa v139, v101, v96 dst_sel:DWORD dst_unused:UNUSED_PAD src0_sel:WORD_1 src1_sel:DWORD
	v_fma_f16 v96, v101, v96, -v140
	v_mul_f16_sdwa v140, v101, v98 dst_sel:DWORD dst_unused:UNUSED_PAD src0_sel:WORD_1 src1_sel:DWORD
	v_fmac_f16_e32 v135, v101, v49
	v_lshrrev_b32_e32 v95, 16, v78
	v_fma_f16 v98, v101, v98, -v141
	v_mul_f16_sdwa v141, v101, v100 dst_sel:DWORD dst_unused:UNUSED_PAD src0_sel:WORD_1 src1_sel:DWORD
	v_fma_f16 v100, v101, v100, -v142
	v_mul_f16_sdwa v142, v101, v103 dst_sel:DWORD dst_unused:UNUSED_PAD src0_sel:WORD_1 src1_sel:DWORD
	v_fmac_f16_e32 v136, v101, v50
	v_fmac_f16_e32 v137, v101, v75
	v_sub_f16_e32 v75, v91, v92
	v_sub_f16_e32 v48, v85, v86
	v_mul_f16_sdwa v143, v101, v84 dst_sel:DWORD dst_unused:UNUSED_PAD src0_sel:WORD_1 src1_sel:DWORD
	v_lshrrev_b32_e32 v93, 16, v77
	v_fmac_f16_e32 v138, v101, v76
	v_sub_f16_e32 v49, v87, v88
	v_sub_f16_e32 v50, v89, v90
	;; [unrolled: 1-line block ×3, first 2 shown]
	v_fmac_f16_e32 v139, v101, v79
	v_fmac_f16_e32 v140, v101, v80
	v_sub_f16_e32 v80, v38, v135
	v_lshrrev_b32_e32 v97, 16, v81
	v_fmac_f16_e32 v142, v101, v84
	v_sub_f16_e32 v84, v51, v136
	v_fma_f16 v88, v91, 2.0, -v75
	v_sub_f16_e32 v91, v95, v96
	v_lshrrev_b32_e32 v99, 16, v82
	v_fmac_f16_e32 v141, v101, v83
	v_fma_f16 v79, v85, 2.0, -v48
	v_sub_f16_e32 v85, v52, v137
	v_lshrrev_b32_e32 v102, 16, v47
	v_fma_f16 v103, v101, v103, -v143
	v_fma_f16 v83, v87, 2.0, -v49
	v_fma_f16 v86, v89, 2.0, -v50
	;; [unrolled: 1-line block ×3, first 2 shown]
	v_sub_f16_e32 v87, v77, v138
	v_sub_f16_e32 v89, v93, v94
	v_fma_f16 v38, v38, 2.0, -v80
	v_sub_f16_e32 v90, v78, v139
	v_fma_f16 v51, v51, 2.0, -v84
	;; [unrolled: 2-line block ×4, first 2 shown]
	v_sub_f16_e32 v96, v82, v141
	v_sub_f16_e32 v98, v99, v100
	;; [unrolled: 1-line block ×4, first 2 shown]
	v_fma_f16 v77, v77, 2.0, -v87
	v_fma_f16 v93, v93, 2.0, -v89
	v_pack_b32_f16 v37, v37, v79
	v_pack_b32_f16 v48, v76, v48
	v_fma_f16 v78, v78, 2.0, -v90
	v_pack_b32_f16 v38, v38, v83
	v_pack_b32_f16 v49, v80, v49
	v_fma_f16 v81, v81, 2.0, -v92
	v_fma_f16 v97, v97, 2.0, -v95
	v_pack_b32_f16 v51, v51, v86
	v_pack_b32_f16 v50, v84, v50
	v_fma_f16 v82, v82, 2.0, -v96
	;; [unrolled: 4-line block ×3, first 2 shown]
	v_fma_f16 v102, v102, 2.0, -v101
	ds_write2_b32 v107, v37, v48 offset1:8
	ds_write2_b32 v114, v38, v49 offset1:8
	;; [unrolled: 1-line block ×4, first 2 shown]
	v_pack_b32_f16 v37, v77, v93
	v_pack_b32_f16 v38, v87, v89
	;; [unrolled: 1-line block ×10, first 2 shown]
	ds_write2_b32 v108, v37, v38 offset1:8
	ds_write2_b32 v109, v48, v49 offset1:8
	;; [unrolled: 1-line block ×5, first 2 shown]
	s_waitcnt lgkmcnt(0)
	s_barrier
	buffer_gl0_inv
	ds_read2_b32 v[37:38], v60 offset1:56
	ds_read2_b32 v[47:48], v35 offset0:80 offset1:136
	ds_read2_b32 v[49:50], v45 offset0:160 offset1:216
	;; [unrolled: 1-line block ×8, first 2 shown]
	s_waitcnt lgkmcnt(0)
	s_barrier
	buffer_gl0_inv
	v_lshrrev_b32_e32 v85, 16, v37
	v_lshrrev_b32_e32 v86, 16, v47
	;; [unrolled: 1-line block ×4, first 2 shown]
	v_mul_f16_sdwa v103, v13, v47 dst_sel:DWORD dst_unused:UNUSED_PAD src0_sel:WORD_1 src1_sel:DWORD
	v_lshrrev_b32_e32 v90, 16, v50
	v_mul_f16_sdwa v101, v13, v86 dst_sel:DWORD dst_unused:UNUSED_PAD src0_sel:WORD_1 src1_sel:DWORD
	v_mul_f16_sdwa v108, v14, v87 dst_sel:DWORD dst_unused:UNUSED_PAD src0_sel:WORD_1 src1_sel:DWORD
	v_lshrrev_b32_e32 v92, 16, v75
	v_fma_f16 v86, v13, v86, -v103
	v_mul_f16_sdwa v103, v105, v89 dst_sel:DWORD dst_unused:UNUSED_PAD src0_sel:WORD_1 src1_sel:DWORD
	v_fmac_f16_e32 v101, v13, v47
	v_mul_f16_sdwa v47, v14, v49 dst_sel:DWORD dst_unused:UNUSED_PAD src0_sel:WORD_1 src1_sel:DWORD
	v_lshrrev_b32_e32 v93, 16, v77
	v_fmac_f16_e32 v108, v14, v49
	v_mul_f16_sdwa v49, v105, v48 dst_sel:DWORD dst_unused:UNUSED_PAD src0_sel:WORD_1 src1_sel:DWORD
	v_fmac_f16_e32 v103, v121, v48
	v_fma_f16 v47, v14, v87, -v47
	v_mul_f16_sdwa v87, v104, v90 dst_sel:DWORD dst_unused:UNUSED_PAD src0_sel:WORD_1 src1_sel:DWORD
	v_mul_f16_sdwa v48, v104, v50 dst_sel:DWORD dst_unused:UNUSED_PAD src0_sel:WORD_1 src1_sel:DWORD
	v_lshrrev_b32_e32 v95, 16, v76
	v_fma_f16 v49, v121, v89, -v49
	v_mul_f16_sdwa v89, v13, v92 dst_sel:DWORD dst_unused:UNUSED_PAD src0_sel:WORD_1 src1_sel:DWORD
	v_fmac_f16_e32 v87, v134, v50
	v_mul_f16_sdwa v50, v13, v75 dst_sel:DWORD dst_unused:UNUSED_PAD src0_sel:WORD_1 src1_sel:DWORD
	v_fma_f16 v48, v134, v90, -v48
	v_mul_f16_sdwa v90, v14, v93 dst_sel:DWORD dst_unused:UNUSED_PAD src0_sel:WORD_1 src1_sel:DWORD
	v_lshrrev_b32_e32 v96, 16, v78
	v_lshrrev_b32_e32 v98, 16, v81
	v_fmac_f16_e32 v89, v13, v75
	v_mul_f16_sdwa v75, v14, v77 dst_sel:DWORD dst_unused:UNUSED_PAD src0_sel:WORD_1 src1_sel:DWORD
	v_fma_f16 v50, v13, v92, -v50
	v_mul_f16_e32 v92, v120, v95
	v_fmac_f16_e32 v90, v14, v77
	v_mul_f16_e32 v77, v120, v76
	v_lshrrev_b32_e32 v99, 16, v83
	v_fma_f16 v75, v14, v93, -v75
	v_mul_f16_e32 v93, v119, v96
	v_fmac_f16_e32 v92, v117, v76
	v_mul_f16_e32 v76, v119, v78
	v_fma_f16 v77, v117, v95, -v77
	v_mul_f16_sdwa v95, v13, v98 dst_sel:DWORD dst_unused:UNUSED_PAD src0_sel:WORD_1 src1_sel:DWORD
	v_lshrrev_b32_e32 v102, 16, v82
	v_lshrrev_b32_e32 v107, 16, v84
	v_fmac_f16_e32 v93, v118, v78
	v_mul_f16_sdwa v78, v13, v81 dst_sel:DWORD dst_unused:UNUSED_PAD src0_sel:WORD_1 src1_sel:DWORD
	v_fma_f16 v76, v118, v96, -v76
	v_mul_f16_sdwa v96, v14, v99 dst_sel:DWORD dst_unused:UNUSED_PAD src0_sel:WORD_1 src1_sel:DWORD
	v_fmac_f16_e32 v95, v13, v81
	v_mul_f16_sdwa v81, v14, v83 dst_sel:DWORD dst_unused:UNUSED_PAD src0_sel:WORD_1 src1_sel:DWORD
	v_fma_f16 v13, v13, v98, -v78
	v_mul_f16_e32 v78, v111, v102
	v_fmac_f16_e32 v96, v14, v83
	v_add_f16_e32 v98, v101, v108
	v_fma_f16 v14, v14, v99, -v81
	v_mul_f16_e32 v81, v106, v107
	v_add_f16_e32 v99, v86, v47
	v_mul_f16_e32 v83, v111, v82
	v_fmac_f16_e32 v78, v105, v82
	v_mul_f16_e32 v82, v106, v84
	v_fmac_f16_e32 v81, v104, v84
	v_add_f16_e32 v84, v37, v101
	v_fma_f16 v37, -0.5, v98, v37
	v_sub_f16_e32 v98, v86, v47
	v_add_f16_e32 v86, v85, v86
	v_fmac_f16_e32 v85, -0.5, v99
	v_sub_f16_e32 v99, v101, v108
	v_lshrrev_b32_e32 v88, 16, v38
	v_fma_f16 v83, v105, v102, -v83
	v_fmamk_f16 v101, v98, 0xbaee, v37
	v_fmac_f16_e32 v37, 0x3aee, v98
	v_add_f16_e32 v47, v86, v47
	v_add_f16_e32 v86, v103, v87
	v_fmamk_f16 v98, v99, 0x3aee, v85
	v_add_f16_e32 v102, v38, v103
	v_fmac_f16_e32 v85, 0xbaee, v99
	v_add_f16_e32 v99, v49, v48
	v_fmac_f16_e32 v38, -0.5, v86
	v_sub_f16_e32 v86, v49, v48
	v_add_f16_e32 v102, v102, v87
	v_add_f16_e32 v49, v88, v49
	v_fmac_f16_e32 v88, -0.5, v99
	v_sub_f16_e32 v87, v103, v87
	v_lshrrev_b32_e32 v91, 16, v51
	v_fmamk_f16 v99, v86, 0xbaee, v38
	v_fmac_f16_e32 v38, 0x3aee, v86
	v_add_f16_e32 v48, v49, v48
	v_add_f16_e32 v49, v89, v90
	v_fmamk_f16 v86, v87, 0x3aee, v88
	v_fmac_f16_e32 v88, 0xbaee, v87
	v_add_f16_e32 v87, v50, v75
	v_add_f16_e32 v103, v51, v89
	v_fma_f16 v49, -0.5, v49, v51
	v_sub_f16_e32 v51, v50, v75
	v_add_f16_e32 v50, v91, v50
	v_fmac_f16_e32 v91, -0.5, v87
	v_sub_f16_e32 v87, v89, v90
	v_lshrrev_b32_e32 v94, 16, v52
	v_fmamk_f16 v89, v51, 0xbaee, v49
	v_fmac_f16_e32 v49, 0x3aee, v51
	v_add_f16_e32 v50, v50, v75
	v_add_f16_e32 v51, v92, v93
	v_fmamk_f16 v75, v87, 0x3aee, v91
	v_fmac_f16_e32 v91, 0xbaee, v87
	v_add_f16_e32 v87, v77, v76
	v_add_f16_e32 v103, v103, v90
	;; [unrolled: 1-line block ×3, first 2 shown]
	v_fmac_f16_e32 v52, -0.5, v51
	v_sub_f16_e32 v51, v77, v76
	v_add_f16_e32 v77, v94, v77
	v_fmac_f16_e32 v94, -0.5, v87
	v_sub_f16_e32 v87, v92, v93
	v_lshrrev_b32_e32 v97, 16, v79
	v_fmamk_f16 v92, v51, 0xbaee, v52
	v_fmac_f16_e32 v52, 0x3aee, v51
	v_add_f16_e32 v51, v77, v76
	v_add_f16_e32 v76, v95, v96
	v_fmamk_f16 v77, v87, 0x3aee, v94
	v_fmac_f16_e32 v94, 0xbaee, v87
	v_add_f16_e32 v87, v13, v14
	v_fma_f16 v82, v104, v107, -v82
	v_add_f16_e32 v90, v90, v93
	v_add_f16_e32 v93, v79, v95
	v_fma_f16 v76, -0.5, v76, v79
	v_sub_f16_e32 v79, v13, v14
	v_add_f16_e32 v13, v97, v13
	v_fmac_f16_e32 v97, -0.5, v87
	v_sub_f16_e32 v87, v95, v96
	v_lshrrev_b32_e32 v100, 16, v80
	v_fmamk_f16 v95, v79, 0xbaee, v76
	v_fmac_f16_e32 v76, 0x3aee, v79
	v_add_f16_e32 v13, v13, v14
	v_add_f16_e32 v14, v78, v81
	v_fmamk_f16 v79, v87, 0x3aee, v97
	v_fmac_f16_e32 v97, 0xbaee, v87
	v_add_f16_e32 v87, v83, v82
	v_add_f16_e32 v84, v84, v108
	;; [unrolled: 1-line block ×4, first 2 shown]
	v_fmac_f16_e32 v80, -0.5, v14
	v_sub_f16_e32 v14, v83, v82
	v_add_f16_e32 v83, v100, v83
	v_fmac_f16_e32 v100, -0.5, v87
	v_sub_f16_e32 v78, v78, v81
	v_pack_b32_f16 v47, v84, v47
	v_fmamk_f16 v87, v14, 0xbaee, v80
	v_fmac_f16_e32 v80, 0x3aee, v14
	v_add_f16_e32 v14, v83, v82
	v_fmamk_f16 v82, v78, 0x3aee, v100
	v_fmac_f16_e32 v100, 0xbaee, v78
	v_pack_b32_f16 v78, v101, v98
	v_pack_b32_f16 v37, v37, v85
	ds_write2_b32 v127, v47, v78 offset1:16
	ds_write_b32 v127, v37 offset:128
	v_pack_b32_f16 v37, v102, v48
	v_pack_b32_f16 v47, v99, v86
	;; [unrolled: 1-line block ×5, first 2 shown]
	v_add_f16_e32 v81, v96, v81
	v_pack_b32_f16 v49, v49, v91
	v_pack_b32_f16 v51, v90, v51
	;; [unrolled: 1-line block ×3, first 2 shown]
	ds_write2_b32 v126, v37, v47 offset1:16
	ds_write_b32 v126, v38 offset:128
	ds_write2_b32 v125, v48, v50 offset1:16
	ds_write_b32 v125, v49 offset:128
	ds_write2_b32 v124, v51, v75 offset1:16
	v_pack_b32_f16 v37, v52, v94
	v_pack_b32_f16 v13, v93, v13
	;; [unrolled: 1-line block ×7, first 2 shown]
	ds_write_b32 v124, v37 offset:128
	ds_write2_b32 v123, v13, v38 offset1:16
	ds_write_b32 v123, v47 offset:128
	ds_write2_b32 v122, v14, v48 offset1:16
	ds_write_b32 v122, v49 offset:128
	s_waitcnt lgkmcnt(0)
	s_barrier
	buffer_gl0_inv
	ds_read2_b32 v[37:38], v60 offset1:56
	ds_read2_b32 v[49:50], v35 offset0:80 offset1:136
	ds_read2_b32 v[51:52], v45 offset0:160 offset1:216
	;; [unrolled: 1-line block ×8, first 2 shown]
	s_waitcnt lgkmcnt(0)
	s_barrier
	buffer_gl0_inv
	v_lshrrev_b32_e32 v36, 16, v37
	v_lshrrev_b32_e32 v85, 16, v49
	;; [unrolled: 1-line block ×4, first 2 shown]
	v_mul_f16_sdwa v100, v27, v49 dst_sel:DWORD dst_unused:UNUSED_PAD src0_sel:WORD_1 src1_sel:DWORD
	v_lshrrev_b32_e32 v89, 16, v52
	v_mul_f16_sdwa v98, v27, v85 dst_sel:DWORD dst_unused:UNUSED_PAD src0_sel:WORD_1 src1_sel:DWORD
	v_mul_f16_sdwa v102, v28, v86 dst_sel:DWORD dst_unused:UNUSED_PAD src0_sel:WORD_1 src1_sel:DWORD
	v_lshrrev_b32_e32 v91, 16, v77
	v_lshrrev_b32_e32 v92, 16, v79
	;; [unrolled: 1-line block ×3, first 2 shown]
	v_fmac_f16_e32 v98, v27, v49
	v_mul_f16_sdwa v49, v28, v51 dst_sel:DWORD dst_unused:UNUSED_PAD src0_sel:WORD_1 src1_sel:DWORD
	v_fma_f16 v27, v27, v85, -v100
	v_mul_f16_sdwa v85, v25, v88 dst_sel:DWORD dst_unused:UNUSED_PAD src0_sel:WORD_1 src1_sel:DWORD
	v_fmac_f16_e32 v102, v28, v51
	v_mul_f16_sdwa v51, v25, v50 dst_sel:DWORD dst_unused:UNUSED_PAD src0_sel:WORD_1 src1_sel:DWORD
	v_fma_f16 v28, v28, v86, -v49
	v_mul_f16_sdwa v49, v26, v89 dst_sel:DWORD dst_unused:UNUSED_PAD src0_sel:WORD_1 src1_sel:DWORD
	;; [unrolled: 4-line block ×3, first 2 shown]
	v_lshrrev_b32_e32 v95, 16, v80
	v_fmac_f16_e32 v49, v26, v52
	v_mul_f16_sdwa v52, v23, v77 dst_sel:DWORD dst_unused:UNUSED_PAD src0_sel:WORD_1 src1_sel:DWORD
	v_fma_f16 v26, v26, v89, -v50
	v_mul_f16_sdwa v50, v24, v92 dst_sel:DWORD dst_unused:UNUSED_PAD src0_sel:WORD_1 src1_sel:DWORD
	v_fmac_f16_e32 v51, v23, v77
	v_mul_f16_sdwa v77, v24, v79 dst_sel:DWORD dst_unused:UNUSED_PAD src0_sel:WORD_1 src1_sel:DWORD
	v_lshrrev_b32_e32 v96, 16, v81
	v_fma_f16 v23, v23, v91, -v52
	v_mul_f16_sdwa v52, v21, v94 dst_sel:DWORD dst_unused:UNUSED_PAD src0_sel:WORD_1 src1_sel:DWORD
	v_fmac_f16_e32 v50, v24, v79
	v_mul_f16_sdwa v79, v21, v78 dst_sel:DWORD dst_unused:UNUSED_PAD src0_sel:WORD_1 src1_sel:DWORD
	v_fma_f16 v24, v24, v92, -v77
	v_mul_f16_sdwa v77, v22, v95 dst_sel:DWORD dst_unused:UNUSED_PAD src0_sel:WORD_1 src1_sel:DWORD
	v_lshrrev_b32_e32 v97, 16, v83
	v_lshrrev_b32_e32 v99, 16, v82
	v_fmac_f16_e32 v52, v21, v78
	v_mul_f16_sdwa v78, v22, v80 dst_sel:DWORD dst_unused:UNUSED_PAD src0_sel:WORD_1 src1_sel:DWORD
	v_fma_f16 v21, v21, v94, -v79
	v_mul_f16_sdwa v79, v19, v96 dst_sel:DWORD dst_unused:UNUSED_PAD src0_sel:WORD_1 src1_sel:DWORD
	v_fmac_f16_e32 v77, v22, v80
	v_mul_f16_sdwa v80, v19, v81 dst_sel:DWORD dst_unused:UNUSED_PAD src0_sel:WORD_1 src1_sel:DWORD
	v_lshrrev_b32_e32 v101, 16, v84
	v_fma_f16 v22, v22, v95, -v78
	v_mul_f16_sdwa v78, v20, v97 dst_sel:DWORD dst_unused:UNUSED_PAD src0_sel:WORD_1 src1_sel:DWORD
	v_fmac_f16_e32 v79, v19, v81
	v_mul_f16_sdwa v81, v20, v83 dst_sel:DWORD dst_unused:UNUSED_PAD src0_sel:WORD_1 src1_sel:DWORD
	v_fma_f16 v19, v19, v96, -v80
	v_mul_f16_sdwa v80, v17, v99 dst_sel:DWORD dst_unused:UNUSED_PAD src0_sel:WORD_1 src1_sel:DWORD
	v_fmac_f16_e32 v78, v20, v83
	v_mul_f16_sdwa v83, v17, v82 dst_sel:DWORD dst_unused:UNUSED_PAD src0_sel:WORD_1 src1_sel:DWORD
	v_fma_f16 v20, v20, v97, -v81
	v_mul_f16_sdwa v81, v18, v101 dst_sel:DWORD dst_unused:UNUSED_PAD src0_sel:WORD_1 src1_sel:DWORD
	v_fmac_f16_e32 v80, v17, v82
	v_mul_f16_sdwa v82, v18, v84 dst_sel:DWORD dst_unused:UNUSED_PAD src0_sel:WORD_1 src1_sel:DWORD
	v_fma_f16 v83, v17, v99, -v83
	v_add_f16_e32 v17, v98, v102
	v_fmac_f16_e32 v81, v18, v84
	v_add_f16_e32 v84, v37, v98
	v_fma_f16 v82, v18, v101, -v82
	v_add_f16_e32 v18, v27, v28
	v_fma_f16 v37, -0.5, v17, v37
	v_sub_f16_e32 v17, v27, v28
	v_add_f16_e32 v27, v36, v27
	v_lshrrev_b32_e32 v87, 16, v38
	v_fmac_f16_e32 v36, -0.5, v18
	v_sub_f16_e32 v18, v98, v102
	v_fmamk_f16 v86, v17, 0xbaee, v37
	v_fmac_f16_e32 v37, 0x3aee, v17
	v_add_f16_e32 v27, v27, v28
	v_add_f16_e32 v17, v85, v49
	v_fmamk_f16 v28, v18, 0x3aee, v36
	v_fmac_f16_e32 v36, 0xbaee, v18
	v_add_f16_e32 v18, v25, v26
	v_add_f16_e32 v88, v38, v85
	v_fmac_f16_e32 v38, -0.5, v17
	v_sub_f16_e32 v17, v25, v26
	v_add_f16_e32 v25, v87, v25
	v_fmac_f16_e32 v87, -0.5, v18
	v_sub_f16_e32 v18, v85, v49
	v_lshrrev_b32_e32 v90, 16, v75
	v_fmamk_f16 v85, v17, 0xbaee, v38
	v_fmac_f16_e32 v38, 0x3aee, v17
	v_add_f16_e32 v25, v25, v26
	v_add_f16_e32 v17, v51, v50
	v_fmamk_f16 v26, v18, 0x3aee, v87
	v_fmac_f16_e32 v87, 0xbaee, v18
	v_add_f16_e32 v18, v23, v24
	v_add_f16_e32 v88, v88, v49
	;; [unrolled: 1-line block ×3, first 2 shown]
	v_fma_f16 v75, -0.5, v17, v75
	v_sub_f16_e32 v17, v23, v24
	v_add_f16_e32 v23, v90, v23
	v_fmac_f16_e32 v90, -0.5, v18
	v_sub_f16_e32 v18, v51, v50
	v_lshrrev_b32_e32 v93, 16, v76
	v_fmamk_f16 v51, v17, 0xbaee, v75
	v_fmac_f16_e32 v75, 0x3aee, v17
	v_add_f16_e32 v23, v23, v24
	v_add_f16_e32 v17, v52, v77
	v_fmamk_f16 v24, v18, 0x3aee, v90
	v_fmac_f16_e32 v90, 0xbaee, v18
	v_add_f16_e32 v18, v21, v22
	v_add_f16_e32 v89, v49, v50
	v_add_f16_e32 v49, v76, v52
	v_fmac_f16_e32 v76, -0.5, v17
	v_sub_f16_e32 v17, v21, v22
	v_add_f16_e32 v21, v93, v21
	v_fmac_f16_e32 v93, -0.5, v18
	v_sub_f16_e32 v18, v52, v77
	v_lshrrev_b32_e32 v47, 16, v13
	v_fmamk_f16 v52, v17, 0xbaee, v76
	v_fmac_f16_e32 v76, 0x3aee, v17
	v_add_f16_e32 v21, v21, v22
	v_add_f16_e32 v17, v79, v78
	v_fmamk_f16 v22, v18, 0x3aee, v93
	v_fmac_f16_e32 v93, 0xbaee, v18
	v_add_f16_e32 v18, v19, v20
	v_add_f16_e32 v91, v49, v77
	;; [unrolled: 1-line block ×3, first 2 shown]
	v_fma_f16 v17, -0.5, v17, v13
	v_sub_f16_e32 v13, v19, v20
	v_add_f16_e32 v19, v47, v19
	v_fmac_f16_e32 v47, -0.5, v18
	v_sub_f16_e32 v18, v79, v78
	v_add_f16_e32 v84, v84, v102
	v_lshrrev_b32_e32 v48, 16, v14
	v_add_f16_e32 v77, v49, v78
	v_fmamk_f16 v78, v13, 0xbaee, v17
	v_fmac_f16_e32 v17, 0x3aee, v13
	v_add_f16_e32 v19, v19, v20
	v_add_f16_e32 v13, v80, v81
	v_fmamk_f16 v20, v18, 0x3aee, v47
	v_fmac_f16_e32 v47, 0xbaee, v18
	v_add_f16_e32 v18, v83, v82
	v_pack_b32_f16 v27, v84, v27
	v_pack_b32_f16 v28, v86, v28
	;; [unrolled: 1-line block ×3, first 2 shown]
	v_add_f16_e32 v49, v14, v80
	v_fmac_f16_e32 v14, -0.5, v13
	v_sub_f16_e32 v50, v83, v82
	v_add_f16_e32 v79, v48, v83
	v_fmac_f16_e32 v48, -0.5, v18
	v_sub_f16_e32 v80, v80, v81
	v_pack_b32_f16 v25, v88, v25
	v_pack_b32_f16 v26, v85, v26
	ds_write2_b32 v131, v27, v28 offset1:48
	ds_write_b32 v131, v36 offset:384
	v_pack_b32_f16 v27, v38, v87
	v_pack_b32_f16 v23, v89, v23
	;; [unrolled: 1-line block ×3, first 2 shown]
	v_add_f16_e32 v18, v49, v81
	v_fmamk_f16 v13, v50, 0xbaee, v14
	v_fmac_f16_e32 v14, 0x3aee, v50
	v_add_f16_e32 v50, v79, v82
	v_fmamk_f16 v49, v80, 0x3aee, v48
	v_pack_b32_f16 v28, v75, v90
	v_fmac_f16_e32 v48, 0xbaee, v80
	v_pack_b32_f16 v21, v91, v21
	v_pack_b32_f16 v22, v52, v22
	ds_write2_b32 v132, v25, v26 offset1:48
	ds_write_b32 v132, v27 offset:384
	ds_write2_b32 v133, v23, v24 offset1:48
	ds_write_b32 v133, v28 offset:384
	ds_write2_b32 v130, v21, v22 offset1:48
	v_pack_b32_f16 v21, v76, v93
	v_pack_b32_f16 v19, v77, v19
	;; [unrolled: 1-line block ×7, first 2 shown]
	ds_write_b32 v130, v21 offset:384
	ds_write2_b32 v128, v19, v20 offset1:48
	ds_write_b32 v128, v22 offset:384
	ds_write2_b32 v129, v23, v24 offset1:48
	ds_write_b32 v129, v25 offset:384
	s_waitcnt lgkmcnt(0)
	s_barrier
	buffer_gl0_inv
	ds_read2_b32 v[19:20], v60 offset1:56
	ds_read2_b32 v[37:38], v60 offset0:144 offset1:200
	ds_read2_b32 v[25:26], v35 offset0:32 offset1:88
	;; [unrolled: 1-line block ×6, first 2 shown]
	s_and_saveexec_b32 s0, vcc_lo
	s_cbranch_execz .LBB0_7
; %bb.6:
	v_add_nc_u32_e32 v17, 0x100, v60
	ds_read2_b32 v[13:14], v44 offset0:16 offset1:160
	ds_read2_b32 v[33:34], v43 offset0:48 offset1:192
	;; [unrolled: 1-line block ×3, first 2 shown]
	ds_read_b32 v41, v60 offset:3904
	s_waitcnt lgkmcnt(3)
	v_lshrrev_b32_e32 v49, 16, v13
	v_lshrrev_b32_e32 v48, 16, v14
	s_waitcnt lgkmcnt(2)
	v_lshrrev_b32_e32 v39, 16, v33
	v_lshrrev_b32_e32 v40, 16, v34
	;; [unrolled: 3-line block ×3, first 2 shown]
	s_waitcnt lgkmcnt(0)
	v_lshrrev_b32_e32 v42, 16, v41
.LBB0_7:
	s_or_b32 exec_lo, exec_lo, s0
	s_waitcnt lgkmcnt(5)
	v_lshrrev_b32_e32 v43, 16, v37
	s_waitcnt lgkmcnt(4)
	v_lshrrev_b32_e32 v44, 16, v25
	;; [unrolled: 2-line block ×5, first 2 shown]
	v_mul_f16_sdwa v80, v8, v43 dst_sel:DWORD dst_unused:UNUSED_PAD src0_sel:WORD_1 src1_sel:DWORD
	v_mul_f16_sdwa v81, v8, v37 dst_sel:DWORD dst_unused:UNUSED_PAD src0_sel:WORD_1 src1_sel:DWORD
	v_mul_f16_sdwa v82, v9, v44 dst_sel:DWORD dst_unused:UNUSED_PAD src0_sel:WORD_1 src1_sel:DWORD
	v_mul_f16_sdwa v83, v9, v25 dst_sel:DWORD dst_unused:UNUSED_PAD src0_sel:WORD_1 src1_sel:DWORD
	s_waitcnt lgkmcnt(0)
	v_lshrrev_b32_e32 v52, 16, v23
	v_lshrrev_b32_e32 v75, 16, v38
	v_fmac_f16_e32 v80, v8, v37
	v_fma_f16 v8, v8, v43, -v81
	v_fmac_f16_e32 v82, v9, v25
	v_fma_f16 v9, v9, v44, -v83
	v_mul_f16_sdwa v25, v10, v45 dst_sel:DWORD dst_unused:UNUSED_PAD src0_sel:WORD_1 src1_sel:DWORD
	v_mul_f16_sdwa v37, v10, v35 dst_sel:DWORD dst_unused:UNUSED_PAD src0_sel:WORD_1 src1_sel:DWORD
	;; [unrolled: 1-line block ×5, first 2 shown]
	v_lshrrev_b32_e32 v76, 16, v26
	v_lshrrev_b32_e32 v77, 16, v36
	;; [unrolled: 1-line block ×3, first 2 shown]
	v_fmac_f16_e32 v25, v10, v35
	v_fma_f16 v10, v10, v45, -v37
	v_fmac_f16_e32 v43, v11, v27
	v_fma_f16 v11, v11, v46, -v44
	v_fmac_f16_e32 v81, v31, v21
	v_mul_f16_sdwa v21, v31, v21 dst_sel:DWORD dst_unused:UNUSED_PAD src0_sel:WORD_1 src1_sel:DWORD
	v_mul_f16_sdwa v27, v32, v52 dst_sel:DWORD dst_unused:UNUSED_PAD src0_sel:WORD_1 src1_sel:DWORD
	;; [unrolled: 1-line block ×5, first 2 shown]
	v_lshrrev_b32_e32 v79, 16, v22
	v_lshrrev_b32_e32 v84, 16, v24
	v_fma_f16 v21, v31, v51, -v21
	v_fmac_f16_e32 v27, v32, v23
	v_fma_f16 v23, v32, v52, -v35
	v_fmac_f16_e32 v37, v4, v38
	v_fma_f16 v4, v4, v75, -v44
	v_mul_f16_sdwa v31, v5, v76 dst_sel:DWORD dst_unused:UNUSED_PAD src0_sel:WORD_1 src1_sel:DWORD
	v_mul_f16_sdwa v32, v5, v26 dst_sel:DWORD dst_unused:UNUSED_PAD src0_sel:WORD_1 src1_sel:DWORD
	;; [unrolled: 1-line block ×5, first 2 shown]
	v_fmac_f16_e32 v31, v5, v26
	v_fma_f16 v5, v5, v76, -v32
	v_fmac_f16_e32 v35, v6, v36
	v_fma_f16 v6, v6, v77, -v38
	v_fmac_f16_e32 v44, v7, v28
	v_mul_f16_sdwa v26, v7, v28 dst_sel:DWORD dst_unused:UNUSED_PAD src0_sel:WORD_1 src1_sel:DWORD
	v_mul_f16_sdwa v28, v29, v79 dst_sel:DWORD dst_unused:UNUSED_PAD src0_sel:WORD_1 src1_sel:DWORD
	v_mul_f16_sdwa v32, v29, v22 dst_sel:DWORD dst_unused:UNUSED_PAD src0_sel:WORD_1 src1_sel:DWORD
	v_mul_f16_sdwa v36, v30, v84 dst_sel:DWORD dst_unused:UNUSED_PAD src0_sel:WORD_1 src1_sel:DWORD
	v_mul_f16_sdwa v38, v30, v24 dst_sel:DWORD dst_unused:UNUSED_PAD src0_sel:WORD_1 src1_sel:DWORD
	v_fma_f16 v7, v7, v78, -v26
	v_fmac_f16_e32 v28, v29, v22
	v_fma_f16 v22, v29, v79, -v32
	v_fmac_f16_e32 v36, v30, v24
	v_fma_f16 v24, v30, v84, -v38
	v_add_f16_e32 v26, v80, v27
	v_add_f16_e32 v29, v8, v23
	v_sub_f16_e32 v8, v8, v23
	v_add_f16_e32 v23, v82, v81
	v_add_f16_e32 v30, v9, v21
	v_sub_f16_e32 v27, v80, v27
	v_sub_f16_e32 v32, v82, v81
	;; [unrolled: 1-line block ×3, first 2 shown]
	v_add_f16_e32 v21, v25, v43
	v_add_f16_e32 v38, v10, v11
	v_sub_f16_e32 v25, v43, v25
	v_sub_f16_e32 v10, v11, v10
	v_add_f16_e32 v11, v23, v26
	v_add_f16_e32 v43, v30, v29
	v_sub_f16_e32 v45, v23, v26
	v_sub_f16_e32 v46, v30, v29
	;; [unrolled: 1-line block ×6, first 2 shown]
	v_add_f16_e32 v51, v25, v32
	v_add_f16_e32 v52, v10, v9
	v_sub_f16_e32 v75, v25, v32
	v_sub_f16_e32 v76, v10, v9
	;; [unrolled: 1-line block ×3, first 2 shown]
	v_add_f16_e32 v11, v21, v11
	v_add_f16_e32 v21, v38, v43
	v_sub_f16_e32 v9, v9, v8
	v_sub_f16_e32 v25, v27, v25
	;; [unrolled: 1-line block ×3, first 2 shown]
	v_add_f16_e32 v27, v51, v27
	v_add_f16_e32 v8, v52, v8
	;; [unrolled: 1-line block ×3, first 2 shown]
	v_add_f16_sdwa v19, v19, v21 dst_sel:DWORD dst_unused:UNUSED_PAD src0_sel:WORD_1 src1_sel:DWORD
	v_mul_f16_e32 v26, 0x3a52, v26
	v_mul_f16_e32 v29, 0x3a52, v29
	;; [unrolled: 1-line block ×8, first 2 shown]
	v_fmamk_f16 v11, v11, 0xbcab, v38
	v_fmamk_f16 v21, v21, 0xbcab, v19
	;; [unrolled: 1-line block ×4, first 2 shown]
	v_fma_f16 v43, v45, 0x39e0, -v43
	v_fma_f16 v51, v46, 0x39e0, -v51
	;; [unrolled: 1-line block ×4, first 2 shown]
	v_fmamk_f16 v45, v25, 0xb574, v52
	v_fmamk_f16 v46, v10, 0xb574, v75
	v_fma_f16 v25, v25, 0x3574, -v76
	v_fma_f16 v10, v10, 0x3574, -v77
	v_fma_f16 v32, v32, 0xbb00, -v52
	v_fma_f16 v9, v9, 0xbb00, -v75
	v_add_f16_e32 v23, v23, v11
	v_add_f16_e32 v30, v30, v21
	;; [unrolled: 1-line block ×6, first 2 shown]
	v_fmac_f16_e32 v45, 0xb70e, v27
	v_fmac_f16_e32 v46, 0xb70e, v8
	;; [unrolled: 1-line block ×6, first 2 shown]
	v_add_f16_e32 v8, v46, v23
	v_sub_f16_e32 v26, v30, v45
	v_add_f16_e32 v27, v10, v11
	v_sub_f16_e32 v29, v21, v25
	v_sub_f16_e32 v10, v11, v10
	v_add_f16_e32 v11, v25, v21
	v_sub_f16_e32 v21, v23, v46
	v_add_f16_e32 v23, v45, v30
	v_add_f16_e32 v25, v37, v36
	;; [unrolled: 1-line block ×3, first 2 shown]
	v_sub_f16_e32 v36, v37, v36
	v_sub_f16_e32 v4, v4, v24
	v_add_f16_e32 v24, v31, v28
	v_add_f16_e32 v37, v5, v22
	v_sub_f16_e32 v52, v43, v9
	v_add_f16_e32 v9, v9, v43
	v_sub_f16_e32 v28, v31, v28
	v_sub_f16_e32 v5, v5, v22
	v_add_f16_e32 v22, v35, v44
	v_add_f16_e32 v31, v6, v7
	v_sub_f16_e32 v35, v44, v35
	v_sub_f16_e32 v6, v7, v6
	v_add_f16_e32 v7, v24, v25
	v_add_f16_e32 v43, v37, v30
	v_add_f16_e32 v75, v32, v51
	v_sub_f16_e32 v32, v51, v32
	v_sub_f16_e32 v44, v24, v25
	;; [unrolled: 1-line block ×7, first 2 shown]
	v_add_f16_e32 v46, v35, v28
	v_add_f16_e32 v51, v6, v5
	v_sub_f16_e32 v76, v35, v28
	v_sub_f16_e32 v77, v6, v5
	;; [unrolled: 1-line block ×3, first 2 shown]
	v_add_f16_e32 v7, v22, v7
	v_add_f16_e32 v22, v31, v43
	v_sub_f16_e32 v5, v5, v4
	v_sub_f16_e32 v35, v36, v35
	;; [unrolled: 1-line block ×3, first 2 shown]
	v_add_f16_e32 v31, v46, v36
	v_add_f16_e32 v4, v51, v4
	;; [unrolled: 1-line block ×3, first 2 shown]
	v_add_f16_sdwa v20, v20, v22 dst_sel:DWORD dst_unused:UNUSED_PAD src0_sel:WORD_1 src1_sel:DWORD
	v_mul_f16_e32 v25, 0x3a52, v25
	v_mul_f16_e32 v30, 0x3a52, v30
	;; [unrolled: 1-line block ×8, first 2 shown]
	v_fmamk_f16 v7, v7, 0xbcab, v36
	v_fmamk_f16 v22, v22, 0xbcab, v20
	;; [unrolled: 1-line block ×4, first 2 shown]
	v_fma_f16 v43, v44, 0x39e0, -v43
	v_fma_f16 v46, v45, 0x39e0, -v46
	v_fma_f16 v25, v44, 0xb9e0, -v25
	v_fma_f16 v30, v45, 0xb9e0, -v30
	v_fmamk_f16 v44, v35, 0xb574, v51
	v_fmamk_f16 v45, v6, 0xb574, v76
	v_fma_f16 v35, v35, 0x3574, -v77
	v_fma_f16 v6, v6, 0x3574, -v78
	;; [unrolled: 1-line block ×4, first 2 shown]
	v_add_f16_e32 v24, v24, v7
	v_add_f16_e32 v37, v37, v22
	;; [unrolled: 1-line block ×6, first 2 shown]
	v_fmac_f16_e32 v45, 0xb70e, v4
	v_fmac_f16_e32 v6, 0xb70e, v4
	;; [unrolled: 1-line block ×4, first 2 shown]
	v_pack_b32_f16 v8, v8, v26
	v_fmac_f16_e32 v28, 0xb70e, v31
	v_fmac_f16_e32 v5, 0xb70e, v4
	v_add_f16_e32 v4, v45, v24
	v_add_f16_e32 v30, v6, v7
	v_sub_f16_e32 v31, v22, v35
	v_sub_f16_e32 v6, v7, v6
	v_add_f16_e32 v7, v35, v22
	v_sub_f16_e32 v22, v24, v45
	v_pack_b32_f16 v24, v27, v29
	v_pack_b32_f16 v26, v52, v75
	v_sub_f16_e32 v25, v37, v44
	ds_write_b32 v60, v8 offset:576
	ds_write_b32 v60, v24 offset:1152
	;; [unrolled: 1-line block ×3, first 2 shown]
	v_pack_b32_f16 v8, v9, v32
	v_sub_f16_e32 v51, v43, v5
	v_add_f16_e32 v76, v28, v46
	v_pack_b32_f16 v9, v10, v11
	v_add_f16_e32 v5, v5, v43
	v_sub_f16_e32 v28, v46, v28
	v_pack_b32_f16 v10, v21, v23
	v_pack_b32_f16 v19, v38, v19
	;; [unrolled: 1-line block ×3, first 2 shown]
	v_add_f16_e32 v27, v44, v37
	v_pack_b32_f16 v4, v4, v25
	ds_write_b32 v60, v8 offset:2304
	ds_write_b32 v60, v9 offset:2880
	;; [unrolled: 1-line block ×3, first 2 shown]
	ds_write2_b32 v60, v19, v11 offset1:56
	ds_write_b32 v60, v4 offset:800
	v_pack_b32_f16 v4, v30, v31
	v_pack_b32_f16 v8, v51, v76
	;; [unrolled: 1-line block ×5, first 2 shown]
	ds_write_b32 v60, v4 offset:1376
	ds_write_b32 v60, v8 offset:1952
	;; [unrolled: 1-line block ×5, first 2 shown]
	s_and_saveexec_b32 s0, vcc_lo
	s_cbranch_execz .LBB0_9
; %bb.8:
	v_mul_f16_sdwa v4, v0, v50 dst_sel:DWORD dst_unused:UNUSED_PAD src0_sel:WORD_1 src1_sel:DWORD
	v_mul_f16_sdwa v7, v1, v49 dst_sel:DWORD dst_unused:UNUSED_PAD src0_sel:WORD_1 src1_sel:DWORD
	;; [unrolled: 1-line block ×5, first 2 shown]
	v_fmac_f16_e32 v4, v0, v18
	v_fmac_f16_e32 v7, v1, v13
	v_mul_f16_sdwa v19, v16, v41 dst_sel:DWORD dst_unused:UNUSED_PAD src0_sel:WORD_1 src1_sel:DWORD
	v_mul_f16_sdwa v18, v0, v18 dst_sel:DWORD dst_unused:UNUSED_PAD src0_sel:WORD_1 src1_sel:DWORD
	v_mul_f16_sdwa v22, v15, v34 dst_sel:DWORD dst_unused:UNUSED_PAD src0_sel:WORD_1 src1_sel:DWORD
	v_mul_f16_sdwa v13, v1, v13 dst_sel:DWORD dst_unused:UNUSED_PAD src0_sel:WORD_1 src1_sel:DWORD
	v_mul_f16_sdwa v5, v3, v39 dst_sel:DWORD dst_unused:UNUSED_PAD src0_sel:WORD_1 src1_sel:DWORD
	v_fmac_f16_e32 v6, v2, v14
	v_fmac_f16_e32 v8, v15, v34
	;; [unrolled: 1-line block ×3, first 2 shown]
	v_fma_f16 v16, v16, v42, -v19
	v_fma_f16 v0, v0, v50, -v18
	v_mul_f16_sdwa v14, v2, v14 dst_sel:DWORD dst_unused:UNUSED_PAD src0_sel:WORD_1 src1_sel:DWORD
	v_mul_f16_sdwa v18, v3, v33 dst_sel:DWORD dst_unused:UNUSED_PAD src0_sel:WORD_1 src1_sel:DWORD
	v_fma_f16 v15, v15, v40, -v22
	v_fma_f16 v1, v1, v49, -v13
	v_fmac_f16_e32 v5, v3, v33
	v_add_f16_e32 v13, v16, v0
	v_fma_f16 v2, v2, v48, -v14
	v_fma_f16 v3, v3, v39, -v18
	v_add_f16_e32 v14, v15, v1
	v_sub_f16_e32 v11, v7, v8
	v_sub_f16_e32 v20, v4, v9
	v_add_f16_e32 v4, v9, v4
	v_add_f16_e32 v22, v3, v2
	;; [unrolled: 1-line block ×4, first 2 shown]
	v_sub_f16_e32 v10, v5, v6
	v_add_f16_e32 v5, v5, v6
	v_sub_f16_e32 v24, v13, v22
	v_add_f16_e32 v23, v22, v23
	;; [unrolled: 2-line block ×3, first 2 shown]
	v_sub_f16_e32 v2, v3, v2
	v_sub_f16_e32 v1, v1, v15
	;; [unrolled: 1-line block ×5, first 2 shown]
	v_add_f16_e32 v22, v5, v22
	v_sub_f16_e32 v16, v2, v1
	v_sub_f16_e32 v19, v20, v10
	v_add_f16_e32 v10, v10, v11
	v_mul_f16_e32 v9, 0x3a52, v24
	v_mul_f16_e32 v3, 0x3a52, v25
	v_sub_f16_e32 v5, v5, v7
	v_sub_f16_e32 v25, v0, v2
	;; [unrolled: 1-line block ×3, first 2 shown]
	v_add_f16_e32 v2, v2, v1
	v_sub_f16_e32 v13, v14, v13
	v_sub_f16_e32 v1, v1, v0
	v_mul_f16_e32 v21, 0x3846, v21
	v_add_f16_e32 v6, v47, v23
	v_mul_f16_e32 v24, 0x2b26, v8
	v_add_f16_e32 v15, v17, v22
	v_mul_f16_e32 v16, 0x3846, v16
	v_fmamk_f16 v8, v8, 0x2b26, v9
	v_fmamk_f16 v17, v5, 0x2b26, v3
	v_mul_f16_e32 v5, 0x2b26, v5
	v_mul_f16_e32 v27, 0xbb00, v11
	v_sub_f16_e32 v4, v7, v4
	v_fma_f16 v7, v13, 0xb9e0, -v9
	v_mul_f16_e32 v9, 0xbb00, v1
	v_fmamk_f16 v18, v19, 0xb574, v21
	v_add_f16_e32 v10, v10, v20
	v_fmamk_f16 v23, v23, 0xbcab, v6
	v_fmamk_f16 v22, v22, 0xbcab, v15
	;; [unrolled: 1-line block ×3, first 2 shown]
	v_add_f16_e32 v0, v2, v0
	v_fma_f16 v13, v13, 0x39e0, -v24
	v_fma_f16 v11, v11, 0xbb00, -v21
	;; [unrolled: 1-line block ×7, first 2 shown]
	v_fmac_f16_e32 v18, 0xb70e, v10
	v_add_f16_e32 v8, v8, v23
	v_add_f16_e32 v17, v17, v22
	v_fmac_f16_e32 v20, 0xb70e, v0
	v_add_f16_e32 v5, v13, v23
	v_fmac_f16_e32 v11, 0xb70e, v10
	v_fmac_f16_e32 v2, 0xb70e, v10
	v_add_f16_e32 v7, v7, v23
	v_add_f16_e32 v3, v3, v22
	v_fmac_f16_e32 v9, 0xb70e, v0
	v_fmac_f16_e32 v1, 0xb70e, v0
	v_add_f16_e32 v0, v4, v22
	v_add_f16_e32 v26, v18, v8
	v_sub_f16_e32 v14, v5, v11
	v_add_f16_e32 v5, v11, v5
	v_sub_f16_e32 v8, v8, v18
	v_add_f16_e32 v11, v20, v17
	v_add_f16_e32 v10, v2, v7
	v_sub_f16_e32 v13, v3, v9
	v_add_f16_e32 v16, v1, v0
	v_sub_f16_e32 v2, v7, v2
	;; [unrolled: 2-line block ×3, first 2 shown]
	v_sub_f16_e32 v4, v17, v20
	v_pack_b32_f16 v1, v15, v6
	v_pack_b32_f16 v6, v11, v8
	v_add_nc_u32_e32 v7, 0x100, v60
	v_pack_b32_f16 v2, v3, v2
	v_pack_b32_f16 v0, v0, v5
	v_add_nc_u32_e32 v3, 0x600, v60
	;; [unrolled: 3-line block ×3, first 2 shown]
	v_pack_b32_f16 v4, v4, v26
	ds_write2_b32 v7, v1, v6 offset0:48 offset1:192
	ds_write2_b32 v3, v2, v0 offset0:16 offset1:160
	;; [unrolled: 1-line block ×3, first 2 shown]
	ds_write_b32 v60, v4 offset:3904
.LBB0_9:
	s_or_b32 exec_lo, exec_lo, s0
	s_waitcnt lgkmcnt(0)
	s_barrier
	buffer_gl0_inv
	ds_read2_b32 v[4:5], v60 offset1:56
	v_add_nc_u32_e32 v3, 0x400, v60
	v_mad_u64_u32 v[10:11], null, s8, v71, 0
	s_mov_b32 s4, 0x10410410
	s_mov_b32 s5, 0x3f504104
	ds_read2_b32 v[0:1], v3 offset0:192 offset1:248
	s_mul_i32 s7, s8, 0xfffff900
	s_waitcnt lgkmcnt(1)
	v_lshrrev_b32_e32 v2, 16, v4
	v_mul_f16_sdwa v6, v74, v4 dst_sel:DWORD dst_unused:UNUSED_PAD src0_sel:WORD_1 src1_sel:DWORD
	v_mul_f16_sdwa v8, v74, v2 dst_sel:DWORD dst_unused:UNUSED_PAD src0_sel:WORD_1 src1_sel:DWORD
	v_fma_f16 v2, v74, v2, -v6
	s_waitcnt lgkmcnt(0)
	v_lshrrev_b32_e32 v15, 16, v1
	v_mad_u64_u32 v[6:7], null, s10, v12, 0
	v_fmac_f16_e32 v8, v74, v4
	v_cvt_f32_f16_e32 v2, v2
	v_mul_f16_sdwa v4, v73, v1 dst_sel:DWORD dst_unused:UNUSED_PAD src0_sel:WORD_1 src1_sel:DWORD
	v_cvt_f32_f16_e32 v13, v8
	v_cvt_f64_f32_e32 v[8:9], v2
	v_fma_f16 v2, v73, v15, -v4
	v_mul_f16_sdwa v4, v73, v15 dst_sel:DWORD dst_unused:UNUSED_PAD src0_sel:WORD_1 src1_sel:DWORD
	v_cvt_f64_f32_e32 v[13:14], v13
	v_cvt_f32_f16_e32 v15, v2
	v_fmac_f16_e32 v4, v73, v1
	v_mov_b32_e32 v2, v7
	v_mov_b32_e32 v1, v11
	v_cvt_f64_f32_e32 v[15:16], v15
	v_cvt_f32_f16_e32 v4, v4
	v_mad_u64_u32 v[11:12], null, s11, v12, v[2:3]
	v_mad_u64_u32 v[1:2], null, s9, v71, v[1:2]
	v_cvt_f64_f32_e32 v[17:18], v4
	v_lshrrev_b32_e32 v2, 16, v5
	v_mul_f16_sdwa v4, v72, v5 dst_sel:DWORD dst_unused:UNUSED_PAD src0_sel:WORD_1 src1_sel:DWORD
	v_mov_b32_e32 v7, v11
	v_mul_f64 v[8:9], v[8:9], s[4:5]
	v_mov_b32_e32 v11, v1
	v_fma_f16 v19, v72, v2, -v4
	v_mul_f64 v[12:13], v[13:14], s[4:5]
	v_mul_f16_sdwa v14, v72, v2 dst_sel:DWORD dst_unused:UNUSED_PAD src0_sel:WORD_1 src1_sel:DWORD
	v_lshlrev_b64 v[1:2], 2, v[6:7]
	v_lshlrev_b64 v[6:7], 2, v[10:11]
	v_fmac_f16_e32 v14, v72, v5
	v_mul_f64 v[4:5], v[15:16], s[4:5]
	v_add_co_u32 v1, vcc_lo, s2, v1
	v_add_co_ci_u32_e32 v2, vcc_lo, s3, v2, vcc_lo
	v_cvt_f32_f16_e32 v10, v14
	v_mul_f64 v[14:15], v[17:18], s[4:5]
	v_cvt_f32_f16_e32 v16, v19
	s_mul_i32 s3, s8, 0x7e0
	v_cvt_f64_f32_e32 v[10:11], v10
	v_and_or_b32 v8, 0x1ff, v9, v8
	v_lshrrev_b32_e32 v17, 8, v9
	v_bfe_u32 v18, v9, 20, 11
	v_lshrrev_b32_e32 v9, 16, v9
	v_and_or_b32 v12, 0x1ff, v13, v12
	v_cmp_ne_u32_e32 vcc_lo, 0, v8
	v_lshrrev_b32_e32 v19, 8, v13
	v_bfe_u32 v20, v13, 20, 11
	v_sub_nc_u32_e32 v21, 0x3f1, v18
	v_add_nc_u32_e32 v18, 0xfffffc10, v18
	v_cndmask_b32_e64 v8, 0, 1, vcc_lo
	v_cmp_ne_u32_e32 vcc_lo, 0, v12
	v_and_or_b32 v4, 0x1ff, v5, v4
	v_bfe_u32 v23, v5, 20, 11
	v_sub_nc_u32_e32 v24, 0x3f1, v20
	v_and_or_b32 v8, 0xffe, v17, v8
	v_cndmask_b32_e64 v12, 0, 1, vcc_lo
	v_cmp_ne_u32_e32 vcc_lo, 0, v4
	v_lshrrev_b32_e32 v22, 8, v5
	v_and_or_b32 v14, 0x1ff, v15, v14
	v_sub_nc_u32_e32 v26, 0x3f1, v23
	v_and_or_b32 v12, 0xffe, v19, v12
	v_cndmask_b32_e64 v4, 0, 1, vcc_lo
	v_med3_i32 v19, v24, 0, 13
	v_cmp_ne_u32_e32 vcc_lo, 0, v8
	v_med3_i32 v17, v21, 0, 13
	v_or_b32_e32 v28, 0x1000, v12
	v_or_b32_e32 v24, 0x1000, v8
	v_lshl_or_b32 v27, v18, 12, v8
	v_cndmask_b32_e64 v8, 0, 1, vcc_lo
	v_cmp_ne_u32_e32 vcc_lo, 0, v14
	v_and_or_b32 v22, 0xffe, v22, v4
	v_med3_i32 v4, v26, 0, 13
	v_lshrrev_b32_e32 v26, v19, v28
	v_add_nc_u32_e32 v20, 0xfffffc10, v20
	v_cndmask_b32_e64 v14, 0, 1, vcc_lo
	v_lshrrev_b32_e32 v31, v17, v24
	v_cmp_ne_u32_e32 vcc_lo, 0, v12
	v_lshlrev_b32_e32 v19, v19, v26
	v_lshrrev_b32_e32 v21, 8, v15
	v_bfe_u32 v25, v15, 20, 11
	v_lshl_or_b32 v30, v20, 12, v12
	v_cndmask_b32_e64 v12, 0, 1, vcc_lo
	v_lshlrev_b32_e32 v17, v17, v31
	v_cmp_ne_u32_e32 vcc_lo, v19, v28
	v_sub_nc_u32_e32 v29, 0x3f1, v25
	v_and_or_b32 v14, 0xffe, v21, v14
	v_add_nc_u32_e32 v25, 0xfffffc10, v25
	v_lshl_or_b32 v12, v12, 9, 0x7c00
	v_cndmask_b32_e64 v19, 0, 1, vcc_lo
	v_cmp_ne_u32_e32 vcc_lo, v17, v24
	v_med3_i32 v21, v29, 0, 13
	v_or_b32_e32 v24, 0x1000, v14
	v_lshrrev_b32_e32 v13, 16, v13
	v_or_b32_e32 v19, v26, v19
	v_cndmask_b32_e64 v17, 0, 1, vcc_lo
	v_cmp_gt_i32_e32 vcc_lo, 1, v20
	v_lshrrev_b32_e32 v26, v21, v24
	v_lshl_or_b32 v8, v8, 9, 0x7c00
	v_or_b32_e32 v28, 0x1000, v22
	v_or_b32_e32 v17, v31, v17
	v_cndmask_b32_e32 v19, v30, v19, vcc_lo
	v_cmp_gt_i32_e32 vcc_lo, 1, v18
	v_lshlrev_b32_e32 v21, v21, v26
	v_lshrrev_b32_e32 v30, v4, v28
	v_lshrrev_b32_e32 v15, 16, v15
	v_and_b32_e32 v29, 7, v19
	v_cndmask_b32_e32 v17, v27, v17, vcc_lo
	v_cmp_ne_u32_e32 vcc_lo, v21, v24
	v_lshrrev_b32_e32 v19, 2, v19
	v_lshl_or_b32 v27, v25, 12, v14
	v_cmp_eq_u32_e64 s0, 3, v29
	v_and_b32_e32 v31, 7, v17
	v_cndmask_b32_e64 v21, 0, 1, vcc_lo
	v_cmp_lt_i32_e32 vcc_lo, 5, v29
	v_lshrrev_b32_e32 v17, 2, v17
	v_lshlrev_b32_e32 v4, v4, v30
	v_cmp_lt_i32_e64 s1, 5, v31
	v_cmp_eq_u32_e64 s2, 3, v31
	s_or_b32 vcc_lo, s0, vcc_lo
	v_or_b32_e32 v21, v26, v21
	v_add_co_ci_u32_e32 v19, vcc_lo, 0, v19, vcc_lo
	s_or_b32 vcc_lo, s2, s1
	v_cmp_ne_u32_e64 s1, v4, v28
	v_add_co_ci_u32_e32 v17, vcc_lo, 0, v17, vcc_lo
	v_cmp_gt_i32_e32 vcc_lo, 31, v20
	v_lshrrev_b32_e32 v5, 16, v5
	v_cndmask_b32_e64 v4, 0, 1, s1
	s_mul_hi_u32 s2, s8, 0x7e0
	v_cndmask_b32_e32 v19, 0x7c00, v19, vcc_lo
	v_cmp_gt_i32_e32 vcc_lo, 31, v18
	v_or_b32_e32 v4, v30, v4
	v_cndmask_b32_e32 v17, 0x7c00, v17, vcc_lo
	v_cmp_eq_u32_e32 vcc_lo, 0x40f, v20
	v_cndmask_b32_e32 v12, v19, v12, vcc_lo
	v_cmp_gt_i32_e32 vcc_lo, 1, v25
	v_and_or_b32 v12, 0x8000, v13, v12
	v_cndmask_b32_e32 v19, v27, v21, vcc_lo
	v_cmp_eq_u32_e32 vcc_lo, 0x40f, v18
	v_add_nc_u32_e32 v18, 0xfffffc10, v23
	v_and_b32_e32 v13, 7, v19
	v_cndmask_b32_e32 v8, v17, v8, vcc_lo
	v_add_co_u32 v6, vcc_lo, v1, v6
	v_add_co_ci_u32_e32 v7, vcc_lo, v2, v7, vcc_lo
	v_cmp_lt_i32_e32 vcc_lo, 5, v13
	v_cmp_eq_u32_e64 s0, 3, v13
	v_and_or_b32 v8, 0x8000, v9, v8
	v_and_b32_e32 v9, 0xffff, v12
	v_lshrrev_b32_e32 v12, 2, v19
	s_or_b32 vcc_lo, s0, vcc_lo
	v_lshl_or_b32 v17, v8, 16, v9
	v_add_co_ci_u32_e32 v12, vcc_lo, 0, v12, vcc_lo
	v_cmp_ne_u32_e32 vcc_lo, 0, v14
	v_mul_f64 v[8:9], v[10:11], s[4:5]
	v_cvt_f64_f32_e32 v[10:11], v16
	v_lshl_or_b32 v14, v18, 12, v22
	global_store_dword v[6:7], v17, off
	v_cndmask_b32_e64 v13, 0, 1, vcc_lo
	v_cmp_gt_i32_e32 vcc_lo, 31, v25
	v_lshl_or_b32 v13, v13, 9, 0x7c00
	v_cndmask_b32_e32 v12, 0x7c00, v12, vcc_lo
	v_cmp_gt_i32_e32 vcc_lo, 1, v18
	v_cndmask_b32_e32 v14, v14, v4, vcc_lo
	v_add_nc_u32_e32 v4, 0x800, v60
	v_cmp_eq_u32_e32 vcc_lo, 0x40f, v25
	v_and_b32_e32 v19, 7, v14
	v_and_or_b32 v8, 0x1ff, v9, v8
	v_cndmask_b32_e32 v16, v12, v13, vcc_lo
	ds_read2_b32 v[12:13], v4 offset0:48 offset1:104
	v_mul_f64 v[10:11], v[10:11], s[4:5]
	v_cmp_lt_i32_e32 vcc_lo, 5, v19
	v_cmp_eq_u32_e64 s0, 3, v19
	v_lshrrev_b32_e32 v14, 2, v14
	v_cmp_ne_u32_e64 s1, 0, v8
	v_and_or_b32 v16, 0x8000, v15, v16
	v_lshrrev_b32_e32 v15, 8, v9
	s_or_b32 vcc_lo, s0, vcc_lo
	v_bfe_u32 v17, v9, 20, 11
	v_add_co_ci_u32_e32 v14, vcc_lo, 0, v14, vcc_lo
	v_cmp_ne_u32_e32 vcc_lo, 0, v22
	v_cndmask_b32_e64 v8, 0, 1, s1
	v_and_b32_e32 v16, 0xffff, v16
	s_mul_i32 s0, s9, 0x7e0
	v_lshrrev_b32_e32 v9, 16, v9
	v_cndmask_b32_e64 v19, 0, 1, vcc_lo
	v_cmp_gt_i32_e32 vcc_lo, 31, v18
	v_and_or_b32 v20, 0xffe, v15, v8
	s_waitcnt lgkmcnt(0)
	v_lshrrev_b32_e32 v21, 16, v12
	v_sub_nc_u32_e32 v8, 0x3f1, v17
	v_lshl_or_b32 v15, v19, 9, 0x7c00
	v_cndmask_b32_e32 v14, 0x7c00, v14, vcc_lo
	v_and_or_b32 v10, 0x1ff, v11, v10
	v_mul_f16_sdwa v22, v70, v21 dst_sel:DWORD dst_unused:UNUSED_PAD src0_sel:WORD_1 src1_sel:DWORD
	v_cmp_eq_u32_e32 vcc_lo, 0x40f, v18
	v_or_b32_e32 v19, 0x1000, v20
	v_med3_i32 v8, v8, 0, 13
	v_bfe_u32 v24, v11, 20, 11
	v_fmac_f16_e32 v22, v70, v12
	v_cndmask_b32_e32 v18, v14, v15, vcc_lo
	v_cmp_ne_u32_e32 vcc_lo, 0, v10
	v_lshrrev_b32_e32 v23, v8, v19
	v_lshrrev_b32_e32 v14, 8, v11
	v_cvt_f32_f16_e32 v15, v22
	v_sub_nc_u32_e32 v22, 0x3f1, v24
	v_cndmask_b32_e64 v10, 0, 1, vcc_lo
	v_lshlrev_b32_e32 v8, v8, v23
	v_and_or_b32 v5, 0x8000, v5, v18
	v_mul_f16_sdwa v12, v70, v12 dst_sel:DWORD dst_unused:UNUSED_PAD src0_sel:WORD_1 src1_sel:DWORD
	v_med3_i32 v22, v22, 0, 13
	v_and_or_b32 v10, 0xffe, v14, v10
	v_cvt_f64_f32_e32 v[14:15], v15
	v_cmp_ne_u32_e32 vcc_lo, v8, v19
	v_add_nc_u32_e32 v19, 0xfffffc10, v17
	s_add_i32 s2, s2, s0
	v_or_b32_e32 v17, 0x1000, v10
	v_lshrrev_b32_e32 v11, 16, v11
	v_cndmask_b32_e64 v8, 0, 1, vcc_lo
	v_lshl_or_b32 v18, v19, 12, v20
	v_cmp_gt_i32_e32 vcc_lo, 1, v19
	v_or_b32_e32 v8, v23, v8
	v_lshrrev_b32_e32 v23, v22, v17
	v_cndmask_b32_e32 v8, v18, v8, vcc_lo
	v_lshlrev_b32_e32 v18, v22, v23
	v_lshl_or_b32 v22, v5, 16, v16
	v_and_b32_e32 v16, 7, v8
	v_mul_f64 v[14:15], v[14:15], s[4:5]
	v_cmp_ne_u32_e32 vcc_lo, v18, v17
	v_add_nc_u32_e32 v18, 0xfffffc10, v24
	v_lshrrev_b32_e32 v8, 2, v8
	v_cmp_eq_u32_e64 s0, 3, v16
	v_cndmask_b32_e64 v17, 0, 1, vcc_lo
	v_add_co_u32 v5, vcc_lo, v6, s3
	v_add_co_ci_u32_e32 v6, vcc_lo, s2, v7, vcc_lo
	v_fma_f16 v7, v70, v21, -v12
	v_cmp_lt_i32_e32 vcc_lo, 5, v16
	v_or_b32_e32 v12, v23, v17
	v_lshl_or_b32 v17, v18, 12, v10
	v_cmp_gt_i32_e64 s1, 1, v18
	v_cvt_f32_f16_e32 v7, v7
	s_or_b32 vcc_lo, s0, vcc_lo
	global_store_dword v[5:6], v22, off
	v_add_co_ci_u32_e32 v16, vcc_lo, 0, v8, vcc_lo
	v_cvt_f64_f32_e32 v[7:8], v7
	v_cndmask_b32_e64 v12, v17, v12, s1
	v_cmp_ne_u32_e32 vcc_lo, 0, v20
	v_and_or_b32 v14, 0x1ff, v15, v14
	v_and_b32_e32 v20, 7, v12
	v_cndmask_b32_e64 v17, 0, 1, vcc_lo
	v_cmp_gt_i32_e32 vcc_lo, 31, v19
	v_cmp_ne_u32_e64 s1, 0, v14
	v_lshrrev_b32_e32 v12, 2, v12
	v_cmp_eq_u32_e64 s0, 3, v20
	v_lshl_or_b32 v23, v17, 9, 0x7c00
	v_cndmask_b32_e32 v21, 0x7c00, v16, vcc_lo
	v_cmp_lt_i32_e32 vcc_lo, 5, v20
	v_cndmask_b32_e64 v14, 0, 1, s1
	v_lshrrev_b32_e32 v16, 8, v15
	v_bfe_u32 v20, v15, 20, 11
	s_mul_i32 s1, s9, 0xfffff900
	s_or_b32 vcc_lo, s0, vcc_lo
	s_mul_hi_u32 s0, s8, 0xfffff900
	v_add_co_ci_u32_e32 v12, vcc_lo, 0, v12, vcc_lo
	v_and_or_b32 v14, 0xffe, v16, v14
	ds_read2_b32 v[16:17], v60 offset0:112 offset1:168
	v_cmp_ne_u32_e32 vcc_lo, 0, v10
	v_mul_f64 v[7:8], v[7:8], s[4:5]
	v_sub_nc_u32_e32 v24, 0x3f1, v20
	v_or_b32_e32 v25, 0x1000, v14
	s_sub_i32 s6, s0, s8
	v_cndmask_b32_e64 v10, 0, 1, vcc_lo
	v_cmp_gt_i32_e32 vcc_lo, 31, v18
	v_med3_i32 v24, v24, 0, 13
	s_add_i32 s6, s6, s1
	v_lshrrev_b32_e32 v15, 16, v15
	v_lshl_or_b32 v10, v10, 9, 0x7c00
	v_cndmask_b32_e32 v12, 0x7c00, v12, vcc_lo
	v_cmp_eq_u32_e32 vcc_lo, 0x40f, v19
	v_cndmask_b32_e32 v19, v21, v23, vcc_lo
	v_lshrrev_b32_e32 v21, v24, v25
	v_cmp_eq_u32_e32 vcc_lo, 0x40f, v18
	s_waitcnt lgkmcnt(0)
	v_lshrrev_b32_e32 v18, 16, v16
	v_and_or_b32 v9, 0x8000, v9, v19
	v_and_or_b32 v7, 0x1ff, v8, v7
	v_cndmask_b32_e32 v10, v12, v10, vcc_lo
	v_lshlrev_b32_e32 v12, v24, v21
	v_add_nc_u32_e32 v19, 0xfffffc10, v20
	v_and_b32_e32 v20, 0xffff, v9
	v_bfe_u32 v22, v8, 20, 11
	v_and_or_b32 v11, 0x8000, v11, v10
	v_cmp_ne_u32_e32 vcc_lo, v12, v25
	v_mul_f16_sdwa v12, v69, v18 dst_sel:DWORD dst_unused:UNUSED_PAD src0_sel:WORD_1 src1_sel:DWORD
	v_lshl_or_b32 v20, v11, 16, v20
	v_cndmask_b32_e64 v10, 0, 1, vcc_lo
	v_fmac_f16_e32 v12, v69, v16
	v_cmp_ne_u32_e32 vcc_lo, 0, v7
	v_mul_f16_sdwa v16, v69, v16 dst_sel:DWORD dst_unused:UNUSED_PAD src0_sel:WORD_1 src1_sel:DWORD
	v_or_b32_e32 v9, v21, v10
	v_lshl_or_b32 v10, v19, 12, v14
	v_cndmask_b32_e64 v7, 0, 1, vcc_lo
	v_cvt_f32_f16_e32 v12, v12
	v_cmp_gt_i32_e32 vcc_lo, 1, v19
	v_lshrrev_b32_e32 v21, 8, v8
	v_fma_f16 v16, v69, v18, -v16
	v_cndmask_b32_e32 v23, v10, v9, vcc_lo
	v_cvt_f64_f32_e32 v[9:10], v12
	v_and_or_b32 v7, 0xffe, v21, v7
	v_sub_nc_u32_e32 v21, 0x3f1, v22
	v_and_b32_e32 v11, 7, v23
	v_or_b32_e32 v12, 0x1000, v7
	v_med3_i32 v21, v21, 0, 13
	v_cmp_lt_i32_e32 vcc_lo, 5, v11
	v_cmp_eq_u32_e64 s0, 3, v11
	v_lshrrev_b32_e32 v11, 2, v23
	v_lshrrev_b32_e32 v24, v21, v12
	s_or_b32 vcc_lo, s0, vcc_lo
	v_lshlrev_b32_e32 v18, v21, v24
	v_add_co_ci_u32_e32 v21, vcc_lo, 0, v11, vcc_lo
	v_cvt_f32_f16_e32 v11, v16
	v_cmp_ne_u32_e32 vcc_lo, v18, v12
	v_mul_f64 v[9:10], v[9:10], s[4:5]
	v_add_nc_u32_e32 v18, 0xfffffc10, v22
	v_cvt_f64_f32_e32 v[11:12], v11
	v_cndmask_b32_e64 v16, 0, 1, vcc_lo
	v_cmp_ne_u32_e32 vcc_lo, 0, v14
	v_lshl_or_b32 v22, v18, 12, v7
	v_or_b32_e32 v16, v24, v16
	v_cndmask_b32_e64 v14, 0, 1, vcc_lo
	v_cmp_gt_i32_e32 vcc_lo, 31, v19
	v_lshl_or_b32 v14, v14, 9, 0x7c00
	v_cndmask_b32_e32 v21, 0x7c00, v21, vcc_lo
	v_cmp_gt_i32_e32 vcc_lo, 1, v18
	v_cndmask_b32_e32 v16, v22, v16, vcc_lo
	v_cmp_eq_u32_e32 vcc_lo, 0x40f, v19
	v_and_or_b32 v9, 0x1ff, v10, v9
	v_mul_f64 v[11:12], v[11:12], s[4:5]
	v_and_b32_e32 v19, 7, v16
	v_cndmask_b32_e32 v14, v21, v14, vcc_lo
	v_add_co_u32 v5, vcc_lo, v5, s7
	v_cmp_ne_u32_e64 s1, 0, v9
	v_add_co_ci_u32_e32 v6, vcc_lo, s6, v6, vcc_lo
	v_cmp_lt_i32_e32 vcc_lo, 5, v19
	v_cmp_eq_u32_e64 s0, 3, v19
	v_and_or_b32 v14, 0x8000, v15, v14
	v_lshrrev_b32_e32 v15, 2, v16
	v_cndmask_b32_e64 v9, 0, 1, s1
	v_lshrrev_b32_e32 v16, 8, v10
	v_bfe_u32 v19, v10, 20, 11
	s_or_b32 vcc_lo, s0, vcc_lo
	v_lshrrev_b32_e32 v21, 16, v13
	v_add_co_ci_u32_e32 v15, vcc_lo, 0, v15, vcc_lo
	v_and_or_b32 v9, 0xffe, v16, v9
	v_sub_nc_u32_e32 v16, 0x3f1, v19
	v_cmp_ne_u32_e32 vcc_lo, 0, v7
	v_mul_f16_sdwa v23, v68, v21 dst_sel:DWORD dst_unused:UNUSED_PAD src0_sel:WORD_1 src1_sel:DWORD
	v_and_or_b32 v11, 0x1ff, v12, v11
	v_or_b32_e32 v22, 0x1000, v9
	v_med3_i32 v16, v16, 0, 13
	v_cndmask_b32_e64 v7, 0, 1, vcc_lo
	v_cmp_gt_i32_e32 vcc_lo, 31, v18
	v_fmac_f16_e32 v23, v68, v13
	v_bfe_u32 v25, v12, 20, 11
	v_lshrrev_b32_e32 v24, v16, v22
	v_lshl_or_b32 v7, v7, 9, 0x7c00
	v_cndmask_b32_e32 v15, 0x7c00, v15, vcc_lo
	v_cmp_eq_u32_e32 vcc_lo, 0x40f, v18
	v_lshrrev_b32_e32 v18, 16, v8
	v_lshlrev_b32_e32 v16, v16, v24
	v_add_nc_u32_e32 v19, 0xfffffc10, v19
	v_mul_f16_sdwa v13, v68, v13 dst_sel:DWORD dst_unused:UNUSED_PAD src0_sel:WORD_1 src1_sel:DWORD
	v_cndmask_b32_e32 v15, v15, v7, vcc_lo
	v_cmp_ne_u32_e32 vcc_lo, 0, v11
	v_cvt_f32_f16_e32 v7, v23
	v_lshrrev_b32_e32 v23, 8, v12
	v_fma_f16 v13, v68, v21, -v13
	v_and_or_b32 v15, 0x8000, v18, v15
	v_cndmask_b32_e64 v11, 0, 1, vcc_lo
	v_cmp_ne_u32_e32 vcc_lo, v16, v22
	v_cvt_f64_f32_e32 v[7:8], v7
	v_sub_nc_u32_e32 v22, 0x3f1, v25
	v_lshl_or_b32 v18, v19, 12, v9
	v_and_or_b32 v11, 0xffe, v23, v11
	v_cndmask_b32_e64 v16, 0, 1, vcc_lo
	v_cmp_gt_i32_e32 vcc_lo, 1, v19
	v_med3_i32 v22, v22, 0, 13
	v_and_b32_e32 v14, 0xffff, v14
	v_or_b32_e32 v23, 0x1000, v11
	v_or_b32_e32 v16, v24, v16
	v_cvt_f32_f16_e32 v13, v13
	global_store_dword v[5:6], v20, off
	v_lshl_or_b32 v15, v15, 16, v14
	v_lshrrev_b32_e32 v12, 16, v12
	v_cndmask_b32_e32 v16, v18, v16, vcc_lo
	v_lshrrev_b32_e32 v18, v22, v23
	v_add_co_u32 v5, vcc_lo, v5, s3
	v_add_co_ci_u32_e32 v6, vcc_lo, s2, v6, vcc_lo
	v_lshlrev_b32_e32 v21, v22, v18
	v_and_b32_e32 v20, 7, v16
	v_mul_f64 v[7:8], v[7:8], s[4:5]
	v_cvt_f64_f32_e32 v[13:14], v13
	global_store_dword v[5:6], v15, off
	v_cmp_ne_u32_e64 s0, v21, v23
	v_cmp_lt_i32_e32 vcc_lo, 5, v20
	v_lshrrev_b32_e32 v15, 2, v16
	v_add_nc_u32_e32 v22, 0xfffffc10, v25
	v_cndmask_b32_e64 v21, 0, 1, s0
	v_cmp_eq_u32_e64 s0, 3, v20
	v_or_b32_e32 v16, v18, v21
	s_or_b32 vcc_lo, s0, vcc_lo
	v_lshl_or_b32 v18, v22, 12, v11
	v_add_co_ci_u32_e32 v15, vcc_lo, 0, v15, vcc_lo
	v_cmp_ne_u32_e32 vcc_lo, 0, v9
	v_and_or_b32 v7, 0x1ff, v8, v7
	v_cndmask_b32_e64 v9, 0, 1, vcc_lo
	v_cmp_gt_i32_e32 vcc_lo, 1, v22
	v_mul_f64 v[13:14], v[13:14], s[4:5]
	v_lshrrev_b32_e32 v20, 8, v8
	v_bfe_u32 v21, v8, 20, 11
	v_lshl_or_b32 v9, v9, 9, 0x7c00
	v_cndmask_b32_e32 v16, v18, v16, vcc_lo
	v_cmp_gt_i32_e32 vcc_lo, 31, v19
	v_lshrrev_b32_e32 v8, 16, v8
	v_and_b32_e32 v18, 7, v16
	v_cndmask_b32_e32 v15, 0x7c00, v15, vcc_lo
	v_cmp_ne_u32_e32 vcc_lo, 0, v7
	v_cmp_eq_u32_e64 s0, 3, v18
	v_cndmask_b32_e64 v7, 0, 1, vcc_lo
	v_cmp_eq_u32_e32 vcc_lo, 0x40f, v19
	v_lshrrev_b32_e32 v19, 16, v10
	v_lshrrev_b32_e32 v10, 2, v16
	v_and_or_b32 v7, 0xffe, v20, v7
	v_cndmask_b32_e32 v15, v15, v9, vcc_lo
	v_sub_nc_u32_e32 v9, 0x3f1, v21
	v_lshrrev_b32_e32 v20, 16, v17
	v_cmp_lt_i32_e32 vcc_lo, 5, v18
	v_or_b32_e32 v16, 0x1000, v7
	v_lshrrev_b32_e32 v25, 8, v14
	v_med3_i32 v9, v9, 0, 13
	v_mul_f16_sdwa v18, v67, v20 dst_sel:DWORD dst_unused:UNUSED_PAD src0_sel:WORD_1 src1_sel:DWORD
	s_or_b32 vcc_lo, s0, vcc_lo
	v_bfe_u32 v26, v14, 20, 11
	v_add_co_ci_u32_e32 v23, vcc_lo, 0, v10, vcc_lo
	v_and_or_b32 v10, 0x1ff, v14, v13
	v_cmp_ne_u32_e32 vcc_lo, 0, v11
	v_lshrrev_b32_e32 v24, v9, v16
	v_fmac_f16_e32 v18, v67, v17
	v_add_nc_u32_e32 v21, 0xfffffc10, v21
	v_and_or_b32 v15, 0x8000, v19, v15
	v_cndmask_b32_e64 v11, 0, 1, vcc_lo
	v_cmp_ne_u32_e32 vcc_lo, 0, v10
	v_lshlrev_b32_e32 v13, v9, v24
	v_cvt_f32_f16_e32 v9, v18
	v_lshrrev_b32_e32 v14, 16, v14
	v_lshl_or_b32 v11, v11, 9, 0x7c00
	v_cndmask_b32_e64 v18, 0, 1, vcc_lo
	v_cmp_gt_i32_e32 vcc_lo, 31, v22
	v_cvt_f64_f32_e32 v[9:10], v9
	v_and_or_b32 v18, 0xffe, v25, v18
	v_cndmask_b32_e32 v23, 0x7c00, v23, vcc_lo
	v_sub_nc_u32_e32 v25, 0x3f1, v26
	v_cmp_ne_u32_e32 vcc_lo, v13, v16
	v_or_b32_e32 v16, 0x1000, v18
	v_med3_i32 v25, v25, 0, 13
	v_cndmask_b32_e64 v13, 0, 1, vcc_lo
	v_cmp_eq_u32_e32 vcc_lo, 0x40f, v22
	v_lshl_or_b32 v22, v21, 12, v7
	v_or_b32_e32 v13, v24, v13
	v_cndmask_b32_e32 v11, v23, v11, vcc_lo
	v_lshrrev_b32_e32 v23, v25, v16
	v_cmp_gt_i32_e32 vcc_lo, 1, v21
	v_and_or_b32 v11, 0x8000, v12, v11
	v_lshlrev_b32_e32 v19, v25, v23
	v_cndmask_b32_e32 v13, v22, v13, vcc_lo
	v_and_b32_e32 v12, 0xffff, v15
	v_mul_f64 v[9:10], v[9:10], s[4:5]
	v_cmp_ne_u32_e32 vcc_lo, v19, v16
	v_and_b32_e32 v15, 7, v13
	v_lshl_or_b32 v22, v11, 16, v12
	v_mul_f16_sdwa v11, v67, v17 dst_sel:DWORD dst_unused:UNUSED_PAD src0_sel:WORD_1 src1_sel:DWORD
	v_add_nc_u32_e32 v19, 0xfffffc10, v26
	v_cndmask_b32_e64 v16, 0, 1, vcc_lo
	v_cmp_lt_i32_e32 vcc_lo, 5, v15
	v_cmp_eq_u32_e64 s0, 3, v15
	v_fma_f16 v11, v67, v20, -v11
	v_lshrrev_b32_e32 v13, 2, v13
	v_or_b32_e32 v12, v23, v16
	v_lshl_or_b32 v16, v19, 12, v18
	v_cmp_gt_i32_e64 s1, 1, v19
	s_or_b32 vcc_lo, s0, vcc_lo
	v_cvt_f32_f16_e32 v11, v11
	v_add_co_ci_u32_e32 v13, vcc_lo, 0, v13, vcc_lo
	v_cndmask_b32_e64 v17, v16, v12, s1
	v_cmp_ne_u32_e32 vcc_lo, 0, v7
	v_cvt_f64_f32_e32 v[11:12], v11
	v_and_or_b32 v9, 0x1ff, v10, v9
	v_lshrrev_b32_e32 v20, 8, v10
	v_and_b32_e32 v15, 7, v17
	v_cndmask_b32_e64 v7, 0, 1, vcc_lo
	v_cmp_gt_i32_e32 vcc_lo, 31, v21
	v_cmp_ne_u32_e64 s1, 0, v9
	v_bfe_u32 v23, v10, 20, 11
	v_cmp_eq_u32_e64 s0, 3, v15
	v_lshl_or_b32 v7, v7, 9, 0x7c00
	v_cndmask_b32_e32 v13, 0x7c00, v13, vcc_lo
	v_cmp_lt_i32_e32 vcc_lo, 5, v15
	ds_read2_b32 v[15:16], v4 offset0:160 offset1:216
	v_cndmask_b32_e64 v9, 0, 1, s1
	v_lshrrev_b32_e32 v4, 2, v17
	v_cmp_eq_u32_e64 s1, 0x40f, v21
	s_or_b32 vcc_lo, s0, vcc_lo
	v_lshrrev_b32_e32 v10, 16, v10
	v_and_or_b32 v17, 0xffe, v20, v9
	v_sub_nc_u32_e32 v9, 0x3f1, v23
	v_add_co_ci_u32_e32 v4, vcc_lo, 0, v4, vcc_lo
	v_cmp_ne_u32_e32 vcc_lo, 0, v18
	v_mul_f64 v[11:12], v[11:12], s[4:5]
	v_or_b32_e32 v18, 0x1000, v17
	v_med3_i32 v9, v9, 0, 13
	v_cndmask_b32_e64 v7, v13, v7, s1
	v_cndmask_b32_e64 v13, 0, 1, vcc_lo
	v_cmp_gt_i32_e32 vcc_lo, 31, v19
	v_lshrrev_b32_e32 v20, v9, v18
	s_waitcnt lgkmcnt(0)
	v_lshrrev_b32_e32 v21, 16, v15
	v_cndmask_b32_e32 v4, 0x7c00, v4, vcc_lo
	v_lshl_or_b32 v13, v13, 9, 0x7c00
	v_cmp_eq_u32_e32 vcc_lo, 0x40f, v19
	v_lshlrev_b32_e32 v9, v9, v20
	v_mul_f16_sdwa v19, v66, v21 dst_sel:DWORD dst_unused:UNUSED_PAD src0_sel:WORD_1 src1_sel:DWORD
	v_cndmask_b32_e32 v13, v4, v13, vcc_lo
	v_add_co_u32 v4, vcc_lo, v5, s7
	v_add_co_ci_u32_e32 v5, vcc_lo, s6, v6, vcc_lo
	v_fmac_f16_e32 v19, v66, v15
	v_cmp_ne_u32_e32 vcc_lo, v9, v18
	v_and_or_b32 v6, 0x8000, v8, v7
	v_and_or_b32 v11, 0x1ff, v12, v11
	;; [unrolled: 1-line block ×3, first 2 shown]
	v_cvt_f32_f16_e32 v9, v19
	v_cndmask_b32_e64 v7, 0, 1, vcc_lo
	v_and_b32_e32 v13, 0xffff, v6
	v_add_nc_u32_e32 v18, 0xfffffc10, v23
	v_cmp_ne_u32_e32 vcc_lo, 0, v11
	v_lshrrev_b32_e32 v19, 8, v12
	v_or_b32_e32 v14, v20, v7
	v_cvt_f64_f32_e32 v[6:7], v9
	v_lshl_or_b32 v9, v18, 12, v17
	v_cndmask_b32_e64 v11, 0, 1, vcc_lo
	v_cmp_gt_i32_e32 vcc_lo, 1, v18
	v_bfe_u32 v20, v12, 20, 11
	v_mul_f16_sdwa v15, v66, v15 dst_sel:DWORD dst_unused:UNUSED_PAD src0_sel:WORD_1 src1_sel:DWORD
	global_store_dword v[4:5], v22, off
	v_and_or_b32 v19, 0xffe, v19, v11
	v_cndmask_b32_e32 v23, v9, v14, vcc_lo
	v_sub_nc_u32_e32 v9, 0x3f1, v20
	v_fma_f16 v11, v66, v21, -v15
	v_lshl_or_b32 v15, v8, 16, v13
	v_add_co_u32 v8, vcc_lo, v4, s3
	v_and_b32_e32 v21, 7, v23
	v_or_b32_e32 v24, 0x1000, v19
	v_med3_i32 v25, v9, 0, 13
	v_cvt_f32_f16_e32 v11, v11
	v_add_co_ci_u32_e32 v9, vcc_lo, s2, v5, vcc_lo
	v_cmp_lt_i32_e32 vcc_lo, 5, v21
	v_cmp_eq_u32_e64 s0, 3, v21
	v_mul_f64 v[6:7], v[6:7], s[4:5]
	v_lshrrev_b32_e32 v4, 2, v23
	v_lshrrev_b32_e32 v26, v25, v24
	v_cvt_f64_f32_e32 v[13:14], v11
	s_or_b32 vcc_lo, s0, vcc_lo
	global_store_dword v[8:9], v15, off
	v_add_co_ci_u32_e32 v11, vcc_lo, 0, v4, vcc_lo
	v_lshlrev_b32_e32 v5, v25, v26
	v_cmp_ne_u32_e32 vcc_lo, 0, v17
	v_add_nc_u32_e32 v4, 0x200, v60
	v_add_nc_u32_e32 v20, 0xfffffc10, v20
	v_cndmask_b32_e64 v15, 0, 1, vcc_lo
	v_cmp_ne_u32_e32 vcc_lo, v5, v24
	ds_read2_b32 v[4:5], v4 offset0:96 offset1:152
	v_lshl_or_b32 v21, v20, 12, v19
	v_lshl_or_b32 v15, v15, 9, 0x7c00
	v_cndmask_b32_e64 v17, 0, 1, vcc_lo
	v_cmp_gt_i32_e32 vcc_lo, 31, v18
	v_and_or_b32 v6, 0x1ff, v7, v6
	v_bfe_u32 v22, v7, 20, 11
	v_or_b32_e32 v17, v26, v17
	v_cndmask_b32_e32 v11, 0x7c00, v11, vcc_lo
	v_cmp_gt_i32_e32 vcc_lo, 1, v20
	v_mul_f64 v[13:14], v[13:14], s[4:5]
	v_cndmask_b32_e32 v17, v21, v17, vcc_lo
	v_cmp_ne_u32_e32 vcc_lo, 0, v6
	v_lshrrev_b32_e32 v21, 8, v7
	v_cndmask_b32_e64 v6, 0, 1, vcc_lo
	v_cmp_eq_u32_e32 vcc_lo, 0x40f, v18
	v_and_b32_e32 v18, 7, v17
	v_and_or_b32 v6, 0xffe, v21, v6
	v_cndmask_b32_e32 v11, v11, v15, vcc_lo
	v_sub_nc_u32_e32 v15, 0x3f1, v22
	s_waitcnt lgkmcnt(0)
	v_lshrrev_b32_e32 v21, 16, v4
	v_cmp_lt_i32_e32 vcc_lo, 5, v18
	v_or_b32_e32 v24, 0x1000, v6
	v_and_or_b32 v23, 0x8000, v10, v11
	v_med3_i32 v10, v15, 0, 13
	v_mul_f16_sdwa v11, v65, v21 dst_sel:DWORD dst_unused:UNUSED_PAD src0_sel:WORD_1 src1_sel:DWORD
	v_cmp_eq_u32_e64 s0, 3, v18
	v_lshrrev_b32_e32 v15, 2, v17
	v_and_or_b32 v13, 0x1ff, v14, v13
	v_lshrrev_b32_e32 v17, v10, v24
	v_fmac_f16_e32 v11, v65, v4
	s_or_b32 vcc_lo, s0, vcc_lo
	v_lshrrev_b32_e32 v25, 8, v14
	v_add_co_ci_u32_e32 v15, vcc_lo, 0, v15, vcc_lo
	v_lshlrev_b32_e32 v18, v10, v17
	v_cvt_f32_f16_e32 v10, v11
	v_cmp_ne_u32_e32 vcc_lo, 0, v13
	v_bfe_u32 v26, v14, 20, 11
	v_add_nc_u32_e32 v22, 0xfffffc10, v22
	v_mul_f16_sdwa v4, v65, v4 dst_sel:DWORD dst_unused:UNUSED_PAD src0_sel:WORD_1 src1_sel:DWORD
	v_cvt_f64_f32_e32 v[10:11], v10
	v_cndmask_b32_e64 v13, 0, 1, vcc_lo
	v_cmp_gt_i32_e32 vcc_lo, 31, v20
	v_lshrrev_b32_e32 v14, 16, v14
	v_fma_f16 v4, v65, v21, -v4
	v_and_or_b32 v25, 0xffe, v25, v13
	v_cndmask_b32_e32 v15, 0x7c00, v15, vcc_lo
	v_cmp_ne_u32_e32 vcc_lo, v18, v24
	v_sub_nc_u32_e32 v13, 0x3f1, v26
	v_cvt_f32_f16_e32 v4, v4
	v_or_b32_e32 v24, 0x1000, v25
	v_cndmask_b32_e64 v18, 0, 1, vcc_lo
	v_cmp_ne_u32_e32 vcc_lo, 0, v19
	v_med3_i32 v13, v13, 0, 13
	v_or_b32_e32 v17, v17, v18
	v_cndmask_b32_e64 v19, 0, 1, vcc_lo
	v_lshl_or_b32 v18, v22, 12, v6
	v_cmp_gt_i32_e32 vcc_lo, 1, v22
	v_lshrrev_b32_e32 v27, v13, v24
	v_mul_f64 v[10:11], v[10:11], s[4:5]
	v_lshl_or_b32 v19, v19, 9, 0x7c00
	v_cndmask_b32_e32 v17, v18, v17, vcc_lo
	v_cmp_eq_u32_e32 vcc_lo, 0x40f, v20
	v_lshlrev_b32_e32 v18, v13, v27
	v_add_nc_u32_e32 v20, 0xfffffc10, v26
	v_cndmask_b32_e32 v15, v15, v19, vcc_lo
	v_lshrrev_b32_e32 v19, 16, v12
	v_cvt_f64_f32_e32 v[12:13], v4
	v_and_b32_e32 v4, 7, v17
	v_cmp_ne_u32_e32 vcc_lo, v18, v24
	v_lshl_or_b32 v21, v20, 12, v25
	v_and_or_b32 v15, 0x8000, v19, v15
	v_and_b32_e32 v19, 0xffff, v23
	v_cmp_eq_u32_e64 s0, 3, v4
	v_cndmask_b32_e64 v18, 0, 1, vcc_lo
	v_cmp_lt_i32_e32 vcc_lo, 5, v4
	v_cmp_gt_i32_e64 s1, 1, v20
	v_lshl_or_b32 v4, v15, 16, v19
	v_lshrrev_b32_e32 v15, 2, v17
	v_and_or_b32 v10, 0x1ff, v11, v10
	s_or_b32 vcc_lo, s0, vcc_lo
	v_or_b32_e32 v18, v27, v18
	v_lshrrev_b32_e32 v19, 8, v11
	v_add_co_ci_u32_e32 v15, vcc_lo, 0, v15, vcc_lo
	v_cmp_ne_u32_e32 vcc_lo, 0, v6
	v_cndmask_b32_e64 v17, v21, v18, s1
	v_bfe_u32 v21, v11, 20, 11
	v_cmp_eq_u32_e64 s1, 0x40f, v22
	v_mul_f64 v[12:13], v[12:13], s[4:5]
	v_cndmask_b32_e64 v6, 0, 1, vcc_lo
	v_cmp_ne_u32_e32 vcc_lo, 0, v10
	v_and_b32_e32 v18, 7, v17
	v_lshrrev_b32_e32 v17, 2, v17
	v_lshl_or_b32 v6, v6, 9, 0x7c00
	v_cndmask_b32_e64 v10, 0, 1, vcc_lo
	v_cmp_gt_i32_e32 vcc_lo, 31, v22
	v_cmp_eq_u32_e64 s0, 3, v18
	v_lshrrev_b32_e32 v22, 16, v7
	v_and_or_b32 v10, 0xffe, v19, v10
	v_sub_nc_u32_e32 v19, 0x3f1, v21
	v_cndmask_b32_e32 v15, 0x7c00, v15, vcc_lo
	v_cmp_lt_i32_e32 vcc_lo, 5, v18
	v_or_b32_e32 v18, 0x1000, v10
	v_med3_i32 v19, v19, 0, 13
	v_cndmask_b32_e64 v15, v15, v6, s1
	s_or_b32 vcc_lo, s0, vcc_lo
	v_add_co_ci_u32_e32 v6, vcc_lo, 0, v17, vcc_lo
	v_lshrrev_b32_e32 v17, v19, v18
	v_and_or_b32 v7, 0x1ff, v13, v12
	v_cmp_gt_i32_e32 vcc_lo, 31, v20
	v_lshrrev_b32_e32 v23, 8, v13
	v_bfe_u32 v24, v13, 20, 11
	v_and_or_b32 v15, 0x8000, v22, v15
	v_cndmask_b32_e32 v12, 0x7c00, v6, vcc_lo
	v_lshlrev_b32_e32 v6, v19, v17
	v_lshrrev_b32_e32 v19, 16, v16
	v_cmp_ne_u32_e32 vcc_lo, 0, v7
	v_and_b32_e32 v22, 0xffff, v15
	v_mul_f16_sdwa v15, v64, v16 dst_sel:DWORD dst_unused:UNUSED_PAD src0_sel:WORD_1 src1_sel:DWORD
	v_mul_f16_sdwa v26, v64, v19 dst_sel:DWORD dst_unused:UNUSED_PAD src0_sel:WORD_1 src1_sel:DWORD
	v_cndmask_b32_e64 v7, 0, 1, vcc_lo
	v_cmp_ne_u32_e32 vcc_lo, 0, v25
	v_fma_f16 v15, v64, v19, -v15
	v_fmac_f16_e32 v26, v64, v16
	v_and_or_b32 v23, 0xffe, v23, v7
	v_cndmask_b32_e64 v25, 0, 1, vcc_lo
	v_sub_nc_u32_e32 v7, 0x3f1, v24
	v_cmp_ne_u32_e32 vcc_lo, v6, v18
	v_add_nc_u32_e32 v18, 0xfffffc10, v21
	v_or_b32_e32 v21, 0x1000, v23
	v_lshl_or_b32 v25, v25, 9, 0x7c00
	v_med3_i32 v27, v7, 0, 13
	v_cndmask_b32_e64 v6, 0, 1, vcc_lo
	v_cvt_f32_f16_e32 v7, v26
	v_cmp_eq_u32_e32 vcc_lo, 0x40f, v20
	v_lshl_or_b32 v26, v18, 12, v10
	v_lshrrev_b32_e32 v28, v27, v21
	v_or_b32_e32 v17, v17, v6
	v_cvt_f64_f32_e32 v[6:7], v7
	v_cndmask_b32_e32 v12, v12, v25, vcc_lo
	v_cmp_gt_i32_e32 vcc_lo, 1, v18
	v_lshlrev_b32_e32 v20, v27, v28
	v_cvt_f32_f16_e32 v15, v15
	v_and_or_b32 v12, 0x8000, v14, v12
	v_cndmask_b32_e32 v17, v26, v17, vcc_lo
	v_add_co_u32 v8, vcc_lo, v8, s7
	v_add_co_ci_u32_e32 v9, vcc_lo, s6, v9, vcc_lo
	v_and_b32_e32 v14, 7, v17
	v_cmp_ne_u32_e32 vcc_lo, v20, v21
	v_add_nc_u32_e32 v21, 0xfffffc10, v24
	global_store_dword v[8:9], v4, off
	v_cmp_eq_u32_e64 s0, 3, v14
	v_cndmask_b32_e64 v20, 0, 1, vcc_lo
	v_cmp_lt_i32_e32 vcc_lo, 5, v14
	v_lshrrev_b32_e32 v14, 2, v17
	v_cmp_gt_i32_e64 s1, 1, v21
	v_mul_f64 v[6:7], v[6:7], s[4:5]
	v_or_b32_e32 v16, v28, v20
	s_or_b32 vcc_lo, s0, vcc_lo
	v_lshl_or_b32 v20, v21, 12, v23
	v_add_co_ci_u32_e32 v17, vcc_lo, 0, v14, vcc_lo
	v_cmp_ne_u32_e32 vcc_lo, 0, v10
	v_cvt_f64_f32_e32 v[14:15], v15
	v_cndmask_b32_e64 v16, v20, v16, s1
	v_cmp_eq_u32_e64 s1, 0x40f, v18
	v_lshl_or_b32 v20, v12, 16, v22
	v_cndmask_b32_e64 v10, 0, 1, vcc_lo
	v_cmp_gt_i32_e32 vcc_lo, 31, v18
	v_and_b32_e32 v19, 7, v16
	v_lshl_or_b32 v10, v10, 9, 0x7c00
	v_cndmask_b32_e32 v17, 0x7c00, v17, vcc_lo
	v_cmp_lt_i32_e32 vcc_lo, 5, v19
	v_cmp_eq_u32_e64 s0, 3, v19
	v_cndmask_b32_e64 v17, v17, v10, s1
	v_lshrrev_b32_e32 v10, 2, v16
	v_and_or_b32 v6, 0x1ff, v7, v6
	s_or_b32 vcc_lo, s0, vcc_lo
	v_lshrrev_b32_e32 v18, 8, v7
	v_bfe_u32 v19, v7, 20, 11
	v_add_co_ci_u32_e32 v12, vcc_lo, 0, v10, vcc_lo
	v_cmp_ne_u32_e32 vcc_lo, 0, v6
	v_lshrrev_b32_e32 v16, 16, v11
	v_mul_f64 v[10:11], v[14:15], s[4:5]
	v_sub_nc_u32_e32 v14, 0x3f1, v19
	v_add_nc_u32_e32 v19, 0xfffffc10, v19
	v_cndmask_b32_e64 v6, 0, 1, vcc_lo
	v_cmp_ne_u32_e32 vcc_lo, 0, v23
	v_and_or_b32 v16, 0x8000, v16, v17
	v_med3_i32 v14, v14, 0, 13
	v_lshrrev_b32_e32 v7, 16, v7
	v_and_or_b32 v6, 0xffe, v18, v6
	v_cndmask_b32_e64 v22, 0, 1, vcc_lo
	v_cmp_gt_i32_e32 vcc_lo, 31, v21
	v_and_b32_e32 v16, 0xffff, v16
	v_or_b32_e32 v18, 0x1000, v6
	v_lshl_or_b32 v15, v22, 9, 0x7c00
	v_lshrrev_b32_e32 v22, 16, v5
	v_cndmask_b32_e32 v12, 0x7c00, v12, vcc_lo
	v_cmp_eq_u32_e32 vcc_lo, 0x40f, v21
	v_lshrrev_b32_e32 v23, v14, v18
	v_lshrrev_b32_e32 v21, 16, v13
	v_mul_f16_sdwa v24, v63, v22 dst_sel:DWORD dst_unused:UNUSED_PAD src0_sel:WORD_1 src1_sel:DWORD
	v_cndmask_b32_e32 v15, v12, v15, vcc_lo
	v_lshlrev_b32_e32 v14, v14, v23
	v_add_co_u32 v12, vcc_lo, v8, s3
	v_fmac_f16_e32 v24, v63, v5
	v_add_co_ci_u32_e32 v13, vcc_lo, s2, v9, vcc_lo
	v_and_or_b32 v10, 0x1ff, v11, v10
	v_cmp_ne_u32_e32 vcc_lo, v14, v18
	v_and_or_b32 v17, 0x8000, v21, v15
	v_cvt_f32_f16_e32 v15, v24
	v_lshrrev_b32_e32 v21, 8, v11
	v_bfe_u32 v24, v11, 20, 11
	v_cndmask_b32_e64 v18, 0, 1, vcc_lo
	v_cmp_ne_u32_e32 vcc_lo, 0, v10
	v_cvt_f64_f32_e32 v[14:15], v15
	v_lshl_or_b32 v25, v17, 16, v16
	v_mul_f16_sdwa v5, v63, v5 dst_sel:DWORD dst_unused:UNUSED_PAD src0_sel:WORD_1 src1_sel:DWORD
	v_or_b32_e32 v18, v23, v18
	v_cndmask_b32_e64 v10, 0, 1, vcc_lo
	v_lshl_or_b32 v23, v19, 12, v6
	v_cmp_gt_i32_e32 vcc_lo, 1, v19
	v_fma_f16 v5, v63, v22, -v5
	v_lshrrev_b32_e32 v11, 16, v11
	v_and_or_b32 v10, 0xffe, v21, v10
	v_sub_nc_u32_e32 v21, 0x3f1, v24
	v_cndmask_b32_e32 v18, v23, v18, vcc_lo
	v_add_co_u32 v16, vcc_lo, v12, s7
	v_or_b32_e32 v23, 0x1000, v10
	v_med3_i32 v21, v21, 0, 13
	v_add_co_ci_u32_e32 v17, vcc_lo, s6, v13, vcc_lo
	v_and_b32_e32 v26, 7, v18
	global_store_dword v[12:13], v20, off
	global_store_dword v[16:17], v25, off
	v_lshrrev_b32_e32 v4, v21, v23
	v_mul_f64 v[8:9], v[14:15], s[4:5]
	v_cmp_lt_i32_e32 vcc_lo, 5, v26
	v_cmp_eq_u32_e64 s0, 3, v26
	v_lshrrev_b32_e32 v13, 2, v18
	v_lshlrev_b32_e32 v12, v21, v4
	v_cvt_f32_f16_e32 v5, v5
	v_add_nc_u32_e32 v14, 0xfffffc10, v24
	s_or_b32 vcc_lo, s0, vcc_lo
	v_cmp_ne_u32_e64 s1, v12, v23
	v_add_co_ci_u32_e32 v15, vcc_lo, 0, v13, vcc_lo
	v_cmp_ne_u32_e32 vcc_lo, 0, v6
	v_cvt_f64_f32_e32 v[5:6], v5
	v_cndmask_b32_e64 v12, 0, 1, s1
	v_lshl_or_b32 v13, v14, 12, v10
	v_cndmask_b32_e64 v18, 0, 1, vcc_lo
	v_cmp_gt_i32_e32 vcc_lo, 1, v14
	v_or_b32_e32 v12, v4, v12
	v_add_nc_u32_e32 v4, 0xc00, v60
	v_and_or_b32 v8, 0x1ff, v9, v8
	v_lshl_or_b32 v18, v18, 9, 0x7c00
	v_cndmask_b32_e32 v20, v13, v12, vcc_lo
	v_cmp_gt_i32_e32 vcc_lo, 31, v19
	ds_read2_b32 v[12:13], v4 offset0:16 offset1:72
	v_lshrrev_b32_e32 v22, 8, v9
	v_bfe_u32 v23, v9, 20, 11
	v_and_b32_e32 v21, 7, v20
	v_cndmask_b32_e32 v15, 0x7c00, v15, vcc_lo
	v_cmp_ne_u32_e32 vcc_lo, 0, v8
	v_lshrrev_b32_e32 v9, 16, v9
	v_cmp_eq_u32_e64 s0, 3, v21
	v_mul_f64 v[5:6], v[5:6], s[4:5]
	v_cndmask_b32_e64 v8, 0, 1, vcc_lo
	v_cmp_eq_u32_e32 vcc_lo, 0x40f, v19
	v_lshrrev_b32_e32 v19, 2, v20
	v_cndmask_b32_e32 v15, v15, v18, vcc_lo
	v_cmp_lt_i32_e32 vcc_lo, 5, v21
	v_and_or_b32 v18, 0xffe, v22, v8
	v_sub_nc_u32_e32 v8, 0x3f1, v23
	s_waitcnt lgkmcnt(0)
	v_lshrrev_b32_e32 v21, 16, v12
	v_and_or_b32 v15, 0x8000, v7, v15
	s_or_b32 vcc_lo, s0, vcc_lo
	v_or_b32_e32 v20, 0x1000, v18
	v_add_co_ci_u32_e32 v19, vcc_lo, 0, v19, vcc_lo
	v_med3_i32 v8, v8, 0, 13
	v_cmp_ne_u32_e32 vcc_lo, 0, v10
	v_mul_f16_sdwa v22, v62, v21 dst_sel:DWORD dst_unused:UNUSED_PAD src0_sel:WORD_1 src1_sel:DWORD
	v_and_b32_e32 v15, 0xffff, v15
	v_lshrrev_b32_e32 v24, v8, v20
	v_cndmask_b32_e64 v10, 0, 1, vcc_lo
	v_cmp_gt_i32_e32 vcc_lo, 31, v14
	v_and_or_b32 v5, 0x1ff, v6, v5
	v_fmac_f16_e32 v22, v62, v12
	v_lshlrev_b32_e32 v8, v8, v24
	v_lshl_or_b32 v10, v10, 9, 0x7c00
	v_cndmask_b32_e32 v19, 0x7c00, v19, vcc_lo
	v_cmp_eq_u32_e32 vcc_lo, 0x40f, v14
	v_cvt_f32_f16_e32 v7, v22
	v_lshrrev_b32_e32 v22, 8, v6
	v_mul_f16_sdwa v12, v62, v12 dst_sel:DWORD dst_unused:UNUSED_PAD src0_sel:WORD_1 src1_sel:DWORD
	v_cndmask_b32_e32 v10, v19, v10, vcc_lo
	v_cmp_ne_u32_e32 vcc_lo, v8, v20
	v_add_nc_u32_e32 v19, 0xfffffc10, v23
	v_bfe_u32 v23, v6, 20, 11
	v_cvt_f64_f32_e32 v[7:8], v7
	v_and_or_b32 v10, 0x8000, v11, v10
	v_cndmask_b32_e64 v14, 0, 1, vcc_lo
	v_cmp_ne_u32_e32 vcc_lo, 0, v5
	v_lshl_or_b32 v20, v19, 12, v18
	v_sub_nc_u32_e32 v11, 0x3f1, v23
	v_lshl_or_b32 v25, v10, 16, v15
	v_or_b32_e32 v14, v24, v14
	v_cndmask_b32_e64 v5, 0, 1, vcc_lo
	v_cmp_gt_i32_e32 vcc_lo, 1, v19
	v_med3_i32 v24, v11, 0, 13
	v_fma_f16 v10, v62, v21, -v12
	v_lshrrev_b32_e32 v6, 16, v6
	v_and_or_b32 v5, 0xffe, v22, v5
	v_cndmask_b32_e32 v14, v20, v14, vcc_lo
	v_cvt_f32_f16_e32 v15, v10
	v_add_co_u32 v10, s1, v16, s3
	v_or_b32_e32 v22, 0x1000, v5
	v_and_b32_e32 v20, 7, v14
	v_lshrrev_b32_e32 v16, 2, v14
	v_add_co_ci_u32_e64 v11, s1, s2, v17, s1
	v_lshrrev_b32_e32 v12, v24, v22
	v_cmp_lt_i32_e32 vcc_lo, 5, v20
	v_cmp_eq_u32_e64 s0, 3, v20
	v_mul_f64 v[7:8], v[7:8], s[4:5]
	v_cvt_f64_f32_e32 v[14:15], v15
	v_lshlrev_b32_e32 v17, v24, v12
	global_store_dword v[10:11], v25, off
	s_or_b32 vcc_lo, s0, vcc_lo
	v_add_co_ci_u32_e32 v20, vcc_lo, 0, v16, vcc_lo
	v_cmp_ne_u32_e32 vcc_lo, v17, v22
	v_add_nc_u32_e32 v22, 0xfffffc10, v23
	ds_read2_b32 v[16:17], v3 offset0:80 offset1:136
	v_cndmask_b32_e64 v21, 0, 1, vcc_lo
	v_cmp_ne_u32_e32 vcc_lo, 0, v18
	v_lshl_or_b32 v18, v22, 12, v5
	v_or_b32_e32 v12, v12, v21
	v_cndmask_b32_e64 v3, 0, 1, vcc_lo
	v_cmp_gt_i32_e32 vcc_lo, 31, v19
	v_and_or_b32 v7, 0x1ff, v8, v7
	v_mul_f64 v[14:15], v[14:15], s[4:5]
	v_lshl_or_b32 v3, v3, 9, 0x7c00
	v_cndmask_b32_e32 v20, 0x7c00, v20, vcc_lo
	v_cmp_gt_i32_e32 vcc_lo, 1, v22
	s_waitcnt lgkmcnt(0)
	v_lshrrev_b32_e32 v21, 16, v16
	v_cndmask_b32_e32 v12, v18, v12, vcc_lo
	v_cmp_eq_u32_e32 vcc_lo, 0x40f, v19
	v_lshrrev_b32_e32 v19, 8, v8
	v_and_b32_e32 v18, 7, v12
	v_cndmask_b32_e32 v3, v20, v3, vcc_lo
	v_cmp_ne_u32_e32 vcc_lo, 0, v7
	v_lshrrev_b32_e32 v12, 2, v12
	v_bfe_u32 v20, v8, 20, 11
	v_cmp_eq_u32_e64 s0, 3, v18
	v_and_or_b32 v3, 0x8000, v9, v3
	v_cndmask_b32_e64 v7, 0, 1, vcc_lo
	v_cmp_lt_i32_e32 vcc_lo, 5, v18
	v_sub_nc_u32_e32 v9, 0x3f1, v20
	v_and_or_b32 v14, 0x1ff, v15, v14
	v_lshrrev_b32_e32 v26, 8, v15
	v_and_or_b32 v7, 0xffe, v19, v7
	s_or_b32 vcc_lo, s0, vcc_lo
	v_mul_f16_sdwa v19, v61, v21 dst_sel:DWORD dst_unused:UNUSED_PAD src0_sel:WORD_1 src1_sel:DWORD
	v_add_co_ci_u32_e32 v12, vcc_lo, 0, v12, vcc_lo
	v_cmp_ne_u32_e32 vcc_lo, 0, v5
	v_or_b32_e32 v23, 0x1000, v7
	v_fmac_f16_e32 v19, v61, v16
	v_med3_i32 v9, v9, 0, 13
	v_bfe_u32 v27, v15, 20, 11
	v_cndmask_b32_e64 v5, 0, 1, vcc_lo
	v_cmp_gt_i32_e32 vcc_lo, 31, v22
	v_cvt_f32_f16_e32 v18, v19
	v_lshrrev_b32_e32 v24, v9, v23
	v_add_nc_u32_e32 v20, 0xfffffc10, v20
	v_lshl_or_b32 v5, v5, 9, 0x7c00
	v_cndmask_b32_e32 v12, 0x7c00, v12, vcc_lo
	v_cmp_ne_u32_e32 vcc_lo, 0, v14
	v_cvt_f64_f32_e32 v[18:19], v18
	v_lshlrev_b32_e32 v9, v9, v24
	v_mul_f16_sdwa v16, v61, v16 dst_sel:DWORD dst_unused:UNUSED_PAD src0_sel:WORD_1 src1_sel:DWORD
	v_and_b32_e32 v3, 0xffff, v3
	v_cndmask_b32_e64 v14, 0, 1, vcc_lo
	v_cmp_eq_u32_e32 vcc_lo, 0x40f, v22
	v_and_or_b32 v14, 0xffe, v26, v14
	v_cndmask_b32_e32 v5, v12, v5, vcc_lo
	v_sub_nc_u32_e32 v12, 0x3f1, v27
	v_cmp_ne_u32_e32 vcc_lo, v9, v23
	v_or_b32_e32 v22, 0x1000, v14
	v_and_or_b32 v23, 0x8000, v6, v5
	v_med3_i32 v12, v12, 0, 13
	v_cndmask_b32_e64 v9, 0, 1, vcc_lo
	v_cmp_gt_i32_e32 vcc_lo, 1, v20
	v_lshl_or_b32 v3, v23, 16, v3
	v_lshrrev_b32_e32 v26, v12, v22
	v_or_b32_e32 v9, v24, v9
	v_lshl_or_b32 v24, v20, 12, v7
	v_mul_f64 v[5:6], v[18:19], s[4:5]
	v_add_nc_u32_e32 v19, 0xfffffc10, v27
	v_lshlrev_b32_e32 v12, v12, v26
	v_cndmask_b32_e32 v18, v24, v9, vcc_lo
	v_add_co_u32 v9, vcc_lo, v10, s7
	v_add_co_ci_u32_e32 v10, vcc_lo, s6, v11, vcc_lo
	v_fma_f16 v11, v61, v21, -v16
	v_cmp_ne_u32_e32 vcc_lo, v12, v22
	v_and_b32_e32 v16, 7, v18
	global_store_dword v[9:10], v3, off
	v_lshl_or_b32 v21, v19, 12, v14
	v_cvt_f32_f16_e32 v11, v11
	v_cndmask_b32_e64 v12, 0, 1, vcc_lo
	v_cmp_gt_i32_e64 s1, 1, v19
	v_cmp_lt_i32_e32 vcc_lo, 5, v16
	v_cmp_eq_u32_e64 s0, 3, v16
	v_lshrrev_b32_e32 v16, 2, v18
	v_or_b32_e32 v3, v26, v12
	v_cvt_f64_f32_e32 v[11:12], v11
	v_and_or_b32 v5, 0x1ff, v6, v5
	s_or_b32 vcc_lo, s0, vcc_lo
	v_lshrrev_b32_e32 v18, 8, v6
	v_cndmask_b32_e64 v3, v21, v3, s1
	v_add_co_ci_u32_e32 v16, vcc_lo, 0, v16, vcc_lo
	v_cmp_ne_u32_e64 s1, 0, v5
	v_cmp_ne_u32_e32 vcc_lo, 0, v7
	v_and_b32_e32 v22, 7, v3
	v_bfe_u32 v21, v6, 20, 11
	v_lshrrev_b32_e32 v3, 2, v3
	v_cndmask_b32_e64 v5, 0, 1, s1
	v_cndmask_b32_e64 v7, 0, 1, vcc_lo
	v_cmp_lt_i32_e32 vcc_lo, 5, v22
	v_cmp_eq_u32_e64 s0, 3, v22
	v_cmp_gt_i32_e64 s1, 31, v20
	v_and_or_b32 v5, 0xffe, v18, v5
	v_sub_nc_u32_e32 v18, 0x3f1, v21
	v_lshl_or_b32 v7, v7, 9, 0x7c00
	s_or_b32 vcc_lo, s0, vcc_lo
	v_cndmask_b32_e64 v16, 0x7c00, v16, s1
	v_mul_f64 v[11:12], v[11:12], s[4:5]
	v_add_co_ci_u32_e32 v3, vcc_lo, 0, v3, vcc_lo
	v_or_b32_e32 v22, 0x1000, v5
	v_med3_i32 v18, v18, 0, 13
	v_cmp_eq_u32_e32 vcc_lo, 0x40f, v20
	v_lshrrev_b32_e32 v20, 16, v8
	v_add_nc_u32_e32 v21, 0xfffffc10, v21
	v_lshrrev_b32_e32 v23, v18, v22
	v_cndmask_b32_e32 v16, v16, v7, vcc_lo
	v_cmp_gt_i32_e32 vcc_lo, 31, v19
	v_lshlrev_b32_e32 v7, v18, v23
	v_lshrrev_b32_e32 v18, 16, v13
	v_cndmask_b32_e32 v3, 0x7c00, v3, vcc_lo
	v_cmp_ne_u32_e32 vcc_lo, 0, v14
	v_and_or_b32 v16, 0x8000, v20, v16
	v_mul_f16_sdwa v14, v59, v18 dst_sel:DWORD dst_unused:UNUSED_PAD src0_sel:WORD_1 src1_sel:DWORD
	v_cndmask_b32_e64 v8, 0, 1, vcc_lo
	v_cmp_ne_u32_e32 vcc_lo, v7, v22
	v_and_or_b32 v11, 0x1ff, v12, v11
	v_fmac_f16_e32 v14, v59, v13
	v_bfe_u32 v24, v12, 20, 11
	v_lshl_or_b32 v22, v8, 9, 0x7c00
	v_cndmask_b32_e64 v7, 0, 1, vcc_lo
	v_cmp_ne_u32_e32 vcc_lo, 0, v11
	v_lshl_or_b32 v8, v21, 12, v5
	v_cvt_f32_f16_e32 v14, v14
	v_mul_f16_sdwa v13, v59, v13 dst_sel:DWORD dst_unused:UNUSED_PAD src0_sel:WORD_1 src1_sel:DWORD
	v_or_b32_e32 v7, v23, v7
	v_cndmask_b32_e64 v11, 0, 1, vcc_lo
	v_lshrrev_b32_e32 v23, 8, v12
	v_cmp_gt_i32_e32 vcc_lo, 1, v21
	v_fma_f16 v13, v59, v18, -v13
	v_lshrrev_b32_e32 v12, 16, v12
	v_and_or_b32 v11, 0xffe, v23, v11
	v_cndmask_b32_e32 v25, v8, v7, vcc_lo
	v_sub_nc_u32_e32 v23, 0x3f1, v24
	v_cvt_f64_f32_e32 v[7:8], v14
	v_cmp_eq_u32_e32 vcc_lo, 0x40f, v19
	v_or_b32_e32 v19, 0x1000, v11
	v_lshrrev_b32_e32 v14, 16, v15
	v_and_b32_e32 v15, 7, v25
	v_cvt_f32_f16_e32 v13, v13
	v_cndmask_b32_e32 v3, v3, v22, vcc_lo
	v_med3_i32 v22, v23, 0, 13
	v_cmp_lt_i32_e32 vcc_lo, 5, v15
	v_cmp_eq_u32_e64 s0, 3, v15
	v_and_or_b32 v3, 0x8000, v14, v3
	v_lshrrev_b32_e32 v20, v22, v19
	v_lshrrev_b32_e32 v14, 2, v25
	v_and_b32_e32 v15, 0xffff, v16
	s_or_b32 vcc_lo, s0, vcc_lo
	v_lshlrev_b32_e32 v16, v22, v20
	v_add_co_ci_u32_e32 v18, vcc_lo, 0, v14, vcc_lo
	v_cvt_f64_f32_e32 v[13:14], v13
	v_lshl_or_b32 v3, v3, 16, v15
	v_cmp_ne_u32_e32 vcc_lo, v16, v19
	v_mul_f64 v[7:8], v[7:8], s[4:5]
	v_add_nc_u32_e32 v19, 0xfffffc10, v24
	v_cndmask_b32_e64 v16, 0, 1, vcc_lo
	v_cmp_ne_u32_e32 vcc_lo, 0, v5
	v_or_b32_e32 v16, v20, v16
	v_cndmask_b32_e64 v5, 0, 1, vcc_lo
	v_cmp_gt_i32_e32 vcc_lo, 31, v21
	v_lshl_or_b32 v20, v19, 12, v11
	v_lshl_or_b32 v5, v5, 9, 0x7c00
	v_cndmask_b32_e32 v18, 0x7c00, v18, vcc_lo
	v_cmp_gt_i32_e32 vcc_lo, 1, v19
	v_cndmask_b32_e32 v16, v20, v16, vcc_lo
	v_cmp_eq_u32_e32 vcc_lo, 0x40f, v21
	v_and_or_b32 v7, 0x1ff, v8, v7
	v_and_b32_e32 v20, 7, v16
	v_cndmask_b32_e32 v15, v18, v5, vcc_lo
	v_add_co_u32 v5, vcc_lo, v9, s3
	v_lshrrev_b32_e32 v18, 16, v6
	v_add_co_ci_u32_e32 v6, vcc_lo, s2, v10, vcc_lo
	v_mul_f64 v[9:10], v[13:14], s[4:5]
	v_cmp_ne_u32_e64 s1, 0, v7
	v_cmp_lt_i32_e32 vcc_lo, 5, v20
	v_cmp_eq_u32_e64 s0, 3, v20
	v_lshrrev_b32_e32 v13, 2, v16
	v_lshrrev_b32_e32 v14, 8, v8
	v_cndmask_b32_e64 v7, 0, 1, s1
	v_bfe_u32 v16, v8, 20, 11
	s_or_b32 vcc_lo, s0, vcc_lo
	v_and_or_b32 v15, 0x8000, v18, v15
	v_add_co_ci_u32_e32 v13, vcc_lo, 0, v13, vcc_lo
	v_lshrrev_b32_e32 v18, 16, v17
	v_cmp_ne_u32_e32 vcc_lo, 0, v11
	v_and_or_b32 v7, 0xffe, v14, v7
	v_sub_nc_u32_e32 v14, 0x3f1, v16
	v_add_nc_u32_e32 v16, 0xfffffc10, v16
	v_mul_f16_sdwa v21, v58, v18 dst_sel:DWORD dst_unused:UNUSED_PAD src0_sel:WORD_1 src1_sel:DWORD
	v_cndmask_b32_e64 v11, 0, 1, vcc_lo
	v_cmp_gt_i32_e32 vcc_lo, 31, v19
	v_or_b32_e32 v20, 0x1000, v7
	v_med3_i32 v14, v14, 0, 13
	v_fmac_f16_e32 v21, v58, v17
	v_lshl_or_b32 v11, v11, 9, 0x7c00
	v_cndmask_b32_e32 v13, 0x7c00, v13, vcc_lo
	v_cmp_eq_u32_e32 vcc_lo, 0x40f, v19
	v_lshrrev_b32_e32 v22, v14, v20
	v_and_or_b32 v9, 0x1ff, v10, v9
	v_bfe_u32 v23, v10, 20, 11
	v_mul_f16_sdwa v17, v58, v17 dst_sel:DWORD dst_unused:UNUSED_PAD src0_sel:WORD_1 src1_sel:DWORD
	v_cndmask_b32_e32 v11, v13, v11, vcc_lo
	v_cvt_f32_f16_e32 v13, v21
	v_lshlrev_b32_e32 v19, v14, v22
	v_cmp_ne_u32_e32 vcc_lo, 0, v9
	v_lshrrev_b32_e32 v21, 8, v10
	v_and_or_b32 v11, 0x8000, v12, v11
	v_cvt_f64_f32_e32 v[13:14], v13
	v_and_b32_e32 v15, 0xffff, v15
	v_cndmask_b32_e64 v9, 0, 1, vcc_lo
	v_cmp_ne_u32_e32 vcc_lo, v19, v20
	v_sub_nc_u32_e32 v20, 0x3f1, v23
	global_store_dword v[5:6], v3, off
	v_fma_f16 v17, v58, v18, -v17
	v_and_or_b32 v9, 0xffe, v21, v9
	v_cndmask_b32_e64 v19, 0, 1, vcc_lo
	v_lshl_or_b32 v21, v16, 12, v7
	v_cmp_gt_i32_e32 vcc_lo, 1, v16
	v_med3_i32 v12, v20, 0, 13
	v_lshl_or_b32 v15, v11, 16, v15
	v_or_b32_e32 v19, v22, v19
	v_or_b32_e32 v22, 0x1000, v9
	v_lshrrev_b32_e32 v24, 16, v10
	v_cndmask_b32_e32 v19, v21, v19, vcc_lo
	v_lshrrev_b32_e32 v20, v12, v22
	v_and_b32_e32 v3, 7, v19
	v_lshlrev_b32_e32 v18, v12, v20
	v_mul_f64 v[11:12], v[13:14], s[4:5]
	v_cvt_f32_f16_e32 v13, v17
	v_add_nc_u32_e32 v17, 0xfffffc10, v23
	v_cmp_lt_i32_e32 vcc_lo, 5, v3
	v_cmp_eq_u32_e64 s0, 3, v3
	v_cmp_ne_u32_e64 s1, v18, v22
	v_lshrrev_b32_e32 v18, 2, v19
	v_cvt_f64_f32_e32 v[13:14], v13
	v_lshl_or_b32 v19, v17, 12, v9
	s_or_b32 vcc_lo, s0, vcc_lo
	v_cndmask_b32_e64 v3, 0, 1, s1
	v_add_co_ci_u32_e32 v18, vcc_lo, 0, v18, vcc_lo
	v_cmp_ne_u32_e32 vcc_lo, 0, v7
	v_add_co_u32 v5, s1, v5, s7
	v_or_b32_e32 v3, v20, v3
	v_add_co_ci_u32_e64 v6, s1, s6, v6, s1
	v_cndmask_b32_e64 v7, 0, 1, vcc_lo
	v_cmp_gt_i32_e32 vcc_lo, 1, v17
	v_and_or_b32 v11, 0x1ff, v12, v11
	v_lshrrev_b32_e32 v21, 8, v12
	v_lshl_or_b32 v7, v7, 9, 0x7c00
	v_cndmask_b32_e32 v19, v19, v3, vcc_lo
	v_cmp_gt_i32_e32 vcc_lo, 31, v16
	ds_read2_b32 v[3:4], v4 offset0:128 offset1:184
	v_bfe_u32 v22, v12, 20, 11
	v_mul_f64 v[13:14], v[13:14], s[4:5]
	v_and_b32_e32 v20, 7, v19
	v_cndmask_b32_e32 v18, 0x7c00, v18, vcc_lo
	v_cmp_ne_u32_e32 vcc_lo, 0, v11
	global_store_dword v[5:6], v15, off
	v_lshrrev_b32_e32 v12, 16, v12
	v_cmp_eq_u32_e64 s0, 3, v20
	v_cndmask_b32_e64 v11, 0, 1, vcc_lo
	v_cmp_eq_u32_e32 vcc_lo, 0x40f, v16
	v_and_or_b32 v11, 0xffe, v21, v11
	v_cndmask_b32_e32 v16, v18, v7, vcc_lo
	v_cmp_lt_i32_e32 vcc_lo, 5, v20
	v_lshrrev_b32_e32 v18, 16, v8
	v_lshrrev_b32_e32 v8, 2, v19
	v_sub_nc_u32_e32 v7, 0x3f1, v22
	v_or_b32_e32 v19, 0x1000, v11
	s_or_b32 vcc_lo, s0, vcc_lo
	s_waitcnt lgkmcnt(0)
	v_lshrrev_b32_e32 v20, 16, v3
	v_add_co_ci_u32_e32 v8, vcc_lo, 0, v8, vcc_lo
	v_med3_i32 v7, v7, 0, 13
	v_cmp_ne_u32_e32 vcc_lo, 0, v9
	v_mul_f16_sdwa v23, v57, v20 dst_sel:DWORD dst_unused:UNUSED_PAD src0_sel:WORD_1 src1_sel:DWORD
	v_and_or_b32 v13, 0x1ff, v14, v13
	v_add_nc_u32_e32 v22, 0xfffffc10, v22
	v_lshrrev_b32_e32 v21, v7, v19
	v_cndmask_b32_e64 v9, 0, 1, vcc_lo
	v_cmp_gt_i32_e32 vcc_lo, 31, v17
	v_fmac_f16_e32 v23, v57, v3
	v_mul_f16_sdwa v3, v57, v3 dst_sel:DWORD dst_unused:UNUSED_PAD src0_sel:WORD_1 src1_sel:DWORD
	v_lshlrev_b32_e32 v7, v7, v21
	v_lshl_or_b32 v9, v9, 9, 0x7c00
	v_cndmask_b32_e32 v8, 0x7c00, v8, vcc_lo
	v_cmp_eq_u32_e32 vcc_lo, 0x40f, v17
	v_fma_f16 v3, v57, v20, -v3
	v_lshl_or_b32 v20, v22, 12, v11
	v_cndmask_b32_e32 v17, v8, v9, vcc_lo
	v_cmp_ne_u32_e32 vcc_lo, v7, v19
	v_lshrrev_b32_e32 v8, 8, v14
	v_cvt_f32_f16_e32 v3, v3
	v_bfe_u32 v19, v14, 20, 11
	v_and_or_b32 v15, 0x8000, v24, v17
	v_cndmask_b32_e64 v9, 0, 1, vcc_lo
	v_cmp_ne_u32_e32 vcc_lo, 0, v13
	v_cvt_f32_f16_e32 v13, v23
	v_lshrrev_b32_e32 v14, 16, v14
	v_or_b32_e32 v9, v21, v9
	v_cndmask_b32_e64 v7, 0, 1, vcc_lo
	v_cmp_gt_i32_e32 vcc_lo, 1, v22
	v_and_or_b32 v23, 0xffe, v8, v7
	v_cvt_f64_f32_e32 v[7:8], v13
	v_cndmask_b32_e32 v20, v20, v9, vcc_lo
	v_cvt_f64_f32_e32 v[9:10], v3
	v_sub_nc_u32_e32 v13, 0x3f1, v19
	v_or_b32_e32 v21, 0x1000, v23
	v_and_or_b32 v3, 0x8000, v18, v16
	v_and_b32_e32 v18, 7, v20
	v_lshrrev_b32_e32 v17, 2, v20
	v_med3_i32 v13, v13, 0, 13
	v_and_b32_e32 v3, 0xffff, v3
	v_cmp_lt_i32_e32 vcc_lo, 5, v18
	v_cmp_eq_u32_e64 s0, 3, v18
	v_lshrrev_b32_e32 v16, v13, v21
	v_add_nc_u32_e32 v18, 0xfffffc10, v19
	v_lshl_or_b32 v3, v15, 16, v3
	s_or_b32 vcc_lo, s0, vcc_lo
	v_lshlrev_b32_e32 v13, v13, v16
	v_add_co_ci_u32_e32 v17, vcc_lo, 0, v17, vcc_lo
	v_cmp_ne_u32_e32 vcc_lo, 0, v11
	v_mul_f64 v[7:8], v[7:8], s[4:5]
	v_cmp_ne_u32_e64 s1, v13, v21
	v_mul_f64 v[9:10], v[9:10], s[4:5]
	v_cndmask_b32_e64 v11, 0, 1, vcc_lo
	v_cmp_gt_i32_e32 vcc_lo, 31, v22
	v_cndmask_b32_e64 v13, 0, 1, s1
	v_lshl_or_b32 v11, v11, 9, 0x7c00
	v_cndmask_b32_e32 v17, 0x7c00, v17, vcc_lo
	v_or_b32_e32 v13, v16, v13
	v_lshl_or_b32 v16, v18, 12, v23
	v_cmp_gt_i32_e32 vcc_lo, 1, v18
	v_cndmask_b32_e32 v13, v16, v13, vcc_lo
	v_cmp_eq_u32_e32 vcc_lo, 0x40f, v22
	v_and_or_b32 v7, 0x1ff, v8, v7
	v_and_b32_e32 v15, 7, v13
	v_cndmask_b32_e32 v11, v17, v11, vcc_lo
	v_and_or_b32 v9, 0x1ff, v10, v9
	v_add_co_u32 v5, vcc_lo, v5, s3
	v_cmp_ne_u32_e64 s0, 0, v7
	v_and_or_b32 v16, 0x8000, v12, v11
	v_lshrrev_b32_e32 v11, 8, v8
	v_bfe_u32 v12, v8, 20, 11
	v_cmp_ne_u32_e64 s1, 0, v9
	v_cndmask_b32_e64 v7, 0, 1, s0
	v_add_co_ci_u32_e32 v6, vcc_lo, s2, v6, vcc_lo
	v_cmp_lt_i32_e32 vcc_lo, 5, v15
	v_cmp_eq_u32_e64 s0, 3, v15
	v_lshrrev_b32_e32 v13, 2, v13
	v_and_or_b32 v7, 0xffe, v11, v7
	v_sub_nc_u32_e32 v11, 0x3f1, v12
	v_cndmask_b32_e64 v9, 0, 1, s1
	v_lshrrev_b32_e32 v15, 8, v10
	v_bfe_u32 v17, v10, 20, 11
	s_or_b32 vcc_lo, s0, vcc_lo
	v_or_b32_e32 v19, 0x1000, v7
	v_add_co_ci_u32_e32 v13, vcc_lo, 0, v13, vcc_lo
	v_med3_i32 v11, v11, 0, 13
	v_and_or_b32 v9, 0xffe, v15, v9
	v_sub_nc_u32_e32 v15, 0x3f1, v17
	v_cmp_ne_u32_e32 vcc_lo, 0, v23
	v_lshrrev_b32_e32 v23, 16, v0
	v_lshrrev_b32_e32 v21, v11, v19
	v_or_b32_e32 v22, 0x1000, v9
	v_med3_i32 v15, v15, 0, 13
	v_cndmask_b32_e64 v20, 0, 1, vcc_lo
	v_cmp_gt_i32_e32 vcc_lo, 31, v18
	v_lshlrev_b32_e32 v11, v11, v21
	v_mul_f16_sdwa v24, v56, v23 dst_sel:DWORD dst_unused:UNUSED_PAD src0_sel:WORD_1 src1_sel:DWORD
	v_lshrrev_b32_e32 v25, v15, v22
	v_lshl_or_b32 v20, v20, 9, 0x7c00
	v_cndmask_b32_e32 v13, 0x7c00, v13, vcc_lo
	v_cmp_eq_u32_e32 vcc_lo, 0x40f, v18
	v_fmac_f16_e32 v24, v56, v0
	v_lshlrev_b32_e32 v15, v15, v25
	v_add_nc_u32_e32 v17, 0xfffffc10, v17
	v_mul_f16_sdwa v0, v56, v0 dst_sel:DWORD dst_unused:UNUSED_PAD src0_sel:WORD_1 src1_sel:DWORD
	v_cndmask_b32_e32 v13, v13, v20, vcc_lo
	v_cmp_ne_u32_e32 vcc_lo, v11, v19
	v_add_nc_u32_e32 v19, 0xfffffc10, v12
	v_cvt_f32_f16_e32 v11, v24
	v_fma_f16 v0, v56, v23, -v0
	v_and_or_b32 v13, 0x8000, v14, v13
	v_cndmask_b32_e64 v18, 0, 1, vcc_lo
	v_cmp_ne_u32_e32 vcc_lo, v15, v22
	v_lshl_or_b32 v20, v19, 12, v7
	v_cvt_f64_f32_e32 v[11:12], v11
	v_and_b32_e32 v16, 0xffff, v16
	v_or_b32_e32 v18, v21, v18
	v_cndmask_b32_e64 v15, 0, 1, vcc_lo
	v_cmp_gt_i32_e32 vcc_lo, 1, v19
	v_cvt_f32_f16_e32 v0, v0
	global_store_dword v[5:6], v3, off
	v_lshl_or_b32 v16, v13, 16, v16
	v_or_b32_e32 v14, v25, v15
	v_lshl_or_b32 v15, v17, 12, v9
	v_cndmask_b32_e32 v18, v20, v18, vcc_lo
	v_cmp_gt_i32_e32 vcc_lo, 1, v17
	v_lshrrev_b32_e32 v20, 16, v4
	v_mul_f16_sdwa v22, v55, v4 dst_sel:DWORD dst_unused:UNUSED_PAD src0_sel:WORD_1 src1_sel:DWORD
	v_cndmask_b32_e32 v15, v15, v14, vcc_lo
	v_and_b32_e32 v14, 7, v18
	v_lshrrev_b32_e32 v18, 2, v18
	v_and_b32_e32 v3, 7, v15
	v_cmp_lt_i32_e32 vcc_lo, 5, v14
	v_cmp_eq_u32_e64 s0, 3, v14
	v_cvt_f64_f32_e32 v[13:14], v0
	v_mul_f64 v[11:12], v[11:12], s[4:5]
	v_cmp_lt_i32_e64 s1, 5, v3
	v_cmp_eq_u32_e64 s2, 3, v3
	s_or_b32 vcc_lo, s0, vcc_lo
	v_lshrrev_b32_e32 v3, 2, v15
	v_add_co_ci_u32_e32 v0, vcc_lo, 0, v18, vcc_lo
	v_cmp_ne_u32_e32 vcc_lo, 0, v7
	v_lshrrev_b32_e32 v15, 16, v8
	v_cndmask_b32_e64 v7, 0, 1, vcc_lo
	s_or_b32 vcc_lo, s2, s1
	v_add_co_ci_u32_e32 v3, vcc_lo, 0, v3, vcc_lo
	v_cmp_ne_u32_e32 vcc_lo, 0, v9
	v_lshl_or_b32 v7, v7, 9, 0x7c00
	v_cndmask_b32_e64 v9, 0, 1, vcc_lo
	v_cmp_gt_i32_e32 vcc_lo, 31, v19
	v_and_or_b32 v11, 0x1ff, v12, v11
	v_lshl_or_b32 v9, v9, 9, 0x7c00
	v_cndmask_b32_e32 v0, 0x7c00, v0, vcc_lo
	v_cmp_gt_i32_e32 vcc_lo, 31, v17
	v_cndmask_b32_e32 v3, 0x7c00, v3, vcc_lo
	v_cmp_eq_u32_e32 vcc_lo, 0x40f, v19
	v_cndmask_b32_e32 v0, v0, v7, vcc_lo
	v_cmp_eq_u32_e32 vcc_lo, 0x40f, v17
	v_mul_f64 v[7:8], v[13:14], s[4:5]
	v_lshrrev_b32_e32 v13, 8, v12
	v_bfe_u32 v14, v12, 20, 11
	v_lshrrev_b32_e32 v17, 16, v10
	v_cndmask_b32_e32 v3, v3, v9, vcc_lo
	v_cmp_ne_u32_e32 vcc_lo, 0, v11
	v_mad_u64_u32 v[9:10], null, s8, v54, 0
	v_and_or_b32 v17, 0x8000, v17, v3
	v_cndmask_b32_e64 v11, 0, 1, vcc_lo
	v_add_co_u32 v5, vcc_lo, v5, s7
	v_add_co_ci_u32_e32 v6, vcc_lo, s6, v6, vcc_lo
	v_and_or_b32 v18, 0xffe, v13, v11
	v_sub_nc_u32_e32 v11, 0x3f1, v14
	v_and_or_b32 v13, 0x8000, v15, v0
	v_mov_b32_e32 v0, v10
	v_or_b32_e32 v15, 0x1000, v18
	v_med3_i32 v19, v11, 0, 13
	v_and_or_b32 v3, 0x1ff, v8, v7
	v_mul_f16_sdwa v7, v55, v20 dst_sel:DWORD dst_unused:UNUSED_PAD src0_sel:WORD_1 src1_sel:DWORD
	v_mad_u64_u32 v[10:11], null, s9, v54, v[0:1]
	v_lshrrev_b32_e32 v21, v19, v15
	v_cmp_ne_u32_e32 vcc_lo, 0, v3
	v_fmac_f16_e32 v7, v55, v4
	v_lshrrev_b32_e32 v11, 8, v8
	v_fma_f16 v20, v55, v20, -v22
	v_lshlrev_b32_e32 v0, v19, v21
	v_cndmask_b32_e64 v3, 0, 1, vcc_lo
	v_cvt_f32_f16_e32 v7, v7
	v_bfe_u32 v19, v8, 20, 11
	v_lshlrev_b64 v[9:10], 2, v[9:10]
	v_cmp_ne_u32_e32 vcc_lo, v0, v15
	v_add_nc_u32_e32 v15, 0xfffffc10, v14
	v_and_or_b32 v11, 0xffe, v11, v3
	v_cvt_f64_f32_e32 v[3:4], v7
	v_sub_nc_u32_e32 v14, 0x3f1, v19
	v_cndmask_b32_e64 v0, 0, 1, vcc_lo
	v_lshl_or_b32 v7, v15, 12, v18
	v_cmp_gt_i32_e32 vcc_lo, 1, v15
	v_add_nc_u32_e32 v19, 0xfffffc10, v19
	v_med3_i32 v22, v14, 0, 13
	v_or_b32_e32 v0, v21, v0
	v_or_b32_e32 v21, 0x1000, v11
	v_lshrrev_b32_e32 v8, 16, v8
	v_cndmask_b32_e32 v0, v7, v0, vcc_lo
	v_and_b32_e32 v7, 0xffff, v13
	v_cvt_f32_f16_e32 v13, v20
	v_lshrrev_b32_e32 v20, v22, v21
	v_and_b32_e32 v23, 7, v0
	v_lshrrev_b32_e32 v0, 2, v0
	v_cvt_f64_f32_e32 v[13:14], v13
	v_lshl_or_b32 v17, v17, 16, v7
	v_lshlrev_b32_e32 v7, v22, v20
	v_cmp_lt_i32_e32 vcc_lo, 5, v23
	v_cmp_eq_u32_e64 s0, 3, v23
	v_mul_f64 v[3:4], v[3:4], s[4:5]
	v_cmp_ne_u32_e64 s1, v7, v21
	s_or_b32 vcc_lo, s0, vcc_lo
	v_add_co_ci_u32_e32 v0, vcc_lo, 0, v0, vcc_lo
	v_cmp_ne_u32_e32 vcc_lo, 0, v18
	v_cndmask_b32_e64 v7, 0, 1, s1
	v_cndmask_b32_e64 v18, 0, 1, vcc_lo
	v_cmp_gt_i32_e32 vcc_lo, 31, v15
	v_or_b32_e32 v7, v20, v7
	v_lshl_or_b32 v20, v19, 12, v11
	v_mul_f64 v[13:14], v[13:14], s[4:5]
	v_lshl_or_b32 v18, v18, 9, 0x7c00
	v_cndmask_b32_e32 v0, 0x7c00, v0, vcc_lo
	v_cmp_gt_i32_e32 vcc_lo, 1, v19
	v_and_or_b32 v3, 0x1ff, v4, v3
	v_cndmask_b32_e32 v7, v20, v7, vcc_lo
	v_add_co_u32 v9, vcc_lo, v1, v9
	v_add_co_ci_u32_e32 v10, vcc_lo, v2, v10, vcc_lo
	v_and_b32_e32 v20, 7, v7
	v_cmp_eq_u32_e32 vcc_lo, 0x40f, v15
	v_cmp_ne_u32_e64 s1, 0, v3
	v_lshrrev_b32_e32 v7, 2, v7
	v_lshrrev_b32_e32 v15, 16, v12
	v_cmp_eq_u32_e64 s0, 3, v20
	v_cndmask_b32_e32 v0, v0, v18, vcc_lo
	v_cmp_lt_i32_e32 vcc_lo, 5, v20
	v_cndmask_b32_e64 v3, 0, 1, s1
	v_lshrrev_b32_e32 v12, 8, v4
	v_bfe_u32 v18, v4, 20, 11
	v_and_or_b32 v13, 0x1ff, v14, v13
	s_or_b32 vcc_lo, s0, vcc_lo
	v_lshrrev_b32_e32 v21, 8, v14
	v_add_co_ci_u32_e32 v7, vcc_lo, 0, v7, vcc_lo
	v_and_or_b32 v3, 0xffe, v12, v3
	v_sub_nc_u32_e32 v12, 0x3f1, v18
	v_cmp_ne_u32_e32 vcc_lo, 0, v11
	v_bfe_u32 v22, v14, 20, 11
	v_add_nc_u32_e32 v18, 0xfffffc10, v18
	v_or_b32_e32 v20, 0x1000, v3
	v_med3_i32 v12, v12, 0, 13
	v_cndmask_b32_e64 v11, 0, 1, vcc_lo
	v_cmp_ne_u32_e32 vcc_lo, 0, v13
	v_and_or_b32 v15, 0x8000, v15, v0
	v_cmp_gt_i32_e64 s1, 31, v18
	v_lshrrev_b32_e32 v23, v12, v20
	v_lshl_or_b32 v11, v11, 9, 0x7c00
	v_cndmask_b32_e64 v13, 0, 1, vcc_lo
	v_cmp_gt_i32_e32 vcc_lo, 31, v19
	v_lshrrev_b32_e32 v4, 16, v4
	v_and_b32_e32 v15, 0xffff, v15
	v_and_or_b32 v13, 0xffe, v21, v13
	v_cndmask_b32_e32 v7, 0x7c00, v7, vcc_lo
	v_sub_nc_u32_e32 v21, 0x3f1, v22
	v_cmp_eq_u32_e32 vcc_lo, 0x40f, v19
	v_lshlrev_b32_e32 v19, v12, v23
	v_or_b32_e32 v24, 0x1000, v13
	v_med3_i32 v21, v21, 0, 13
	v_cndmask_b32_e32 v7, v7, v11, vcc_lo
	v_cmp_ne_u32_e32 vcc_lo, v19, v20
	v_mad_u64_u32 v[11:12], null, s8, v53, 0
	v_lshrrev_b32_e32 v20, v21, v24
	v_and_or_b32 v25, 0x8000, v8, v7
	v_cndmask_b32_e64 v19, 0, 1, vcc_lo
	v_cmp_gt_i32_e32 vcc_lo, 1, v18
	v_lshlrev_b32_e32 v21, v21, v20
	v_mov_b32_e32 v0, v12
	v_or_b32_e32 v19, v23, v19
	v_lshl_or_b32 v23, v18, 12, v3
	v_lshl_or_b32 v15, v25, 16, v15
	v_mad_u64_u32 v[7:8], null, s9, v53, v[0:1]
	v_cndmask_b32_e32 v19, v23, v19, vcc_lo
	v_cmp_ne_u32_e32 vcc_lo, v21, v24
	v_add_nc_u32_e32 v21, 0xfffffc10, v22
	v_and_b32_e32 v0, 7, v19
	v_cndmask_b32_e64 v12, 0, 1, vcc_lo
	v_cmp_gt_i32_e64 s0, 1, v21
	v_cmp_lt_i32_e32 vcc_lo, 5, v0
	v_or_b32_e32 v8, v20, v12
	v_lshl_or_b32 v12, v21, 12, v13
	v_cndmask_b32_e64 v8, v12, v8, s0
	v_cmp_eq_u32_e64 s0, 3, v0
	v_lshrrev_b32_e32 v0, 2, v19
	v_mov_b32_e32 v12, v7
	v_and_b32_e32 v7, 7, v8
	s_or_b32 vcc_lo, s0, vcc_lo
	v_add_co_ci_u32_e32 v0, vcc_lo, 0, v0, vcc_lo
	v_cmp_ne_u32_e32 vcc_lo, 0, v3
	v_cmp_eq_u32_e64 s0, 3, v7
	v_cndmask_b32_e64 v0, 0x7c00, v0, s1
	v_cndmask_b32_e64 v3, 0, 1, vcc_lo
	v_cmp_lt_i32_e32 vcc_lo, 5, v7
	v_lshrrev_b32_e32 v7, 2, v8
	v_lshl_or_b32 v3, v3, 9, 0x7c00
	s_or_b32 vcc_lo, s0, vcc_lo
	v_add_co_ci_u32_e32 v19, vcc_lo, 0, v7, vcc_lo
	v_cmp_ne_u32_e32 vcc_lo, 0, v13
	v_mad_u64_u32 v[7:8], null, 0x8c0, s8, v[5:6]
	v_cndmask_b32_e64 v13, 0, 1, vcc_lo
	v_cmp_gt_i32_e32 vcc_lo, 31, v21
	v_lshl_or_b32 v13, v13, 9, 0x7c00
	v_cndmask_b32_e32 v19, 0x7c00, v19, vcc_lo
	v_cmp_eq_u32_e32 vcc_lo, 0x40f, v18
	v_cndmask_b32_e32 v3, v0, v3, vcc_lo
	v_cmp_eq_u32_e32 vcc_lo, 0x40f, v21
	v_mov_b32_e32 v0, v8
	v_lshrrev_b32_e32 v8, 16, v14
	v_and_or_b32 v14, 0x8000, v4, v3
	v_cndmask_b32_e32 v13, v19, v13, vcc_lo
	v_lshlrev_b64 v[3:4], 2, v[11:12]
	v_mad_u64_u32 v[11:12], null, 0x8c0, s9, v[0:1]
	v_and_b32_e32 v12, 0xffff, v14
	v_and_or_b32 v8, 0x8000, v8, v13
	v_add_co_u32 v0, vcc_lo, v1, v3
	v_add_co_ci_u32_e32 v1, vcc_lo, v2, v4, vcc_lo
	v_lshl_or_b32 v2, v8, 16, v12
	v_mov_b32_e32 v8, v11
	global_store_dword v[5:6], v16, off
	global_store_dword v[9:10], v17, off
	;; [unrolled: 1-line block ×4, first 2 shown]
.LBB0_10:
	s_endpgm
	.section	.rodata,"a",@progbits
	.p2align	6, 0x0
	.amdhsa_kernel bluestein_single_back_len1008_dim1_half_op_CI_CI
		.amdhsa_group_segment_fixed_size 4032
		.amdhsa_private_segment_fixed_size 0
		.amdhsa_kernarg_size 104
		.amdhsa_user_sgpr_count 6
		.amdhsa_user_sgpr_private_segment_buffer 1
		.amdhsa_user_sgpr_dispatch_ptr 0
		.amdhsa_user_sgpr_queue_ptr 0
		.amdhsa_user_sgpr_kernarg_segment_ptr 1
		.amdhsa_user_sgpr_dispatch_id 0
		.amdhsa_user_sgpr_flat_scratch_init 0
		.amdhsa_user_sgpr_private_segment_size 0
		.amdhsa_wavefront_size32 1
		.amdhsa_uses_dynamic_stack 0
		.amdhsa_system_sgpr_private_segment_wavefront_offset 0
		.amdhsa_system_sgpr_workgroup_id_x 1
		.amdhsa_system_sgpr_workgroup_id_y 0
		.amdhsa_system_sgpr_workgroup_id_z 0
		.amdhsa_system_sgpr_workgroup_info 0
		.amdhsa_system_vgpr_workitem_id 0
		.amdhsa_next_free_vgpr 194
		.amdhsa_next_free_sgpr 20
		.amdhsa_reserve_vcc 1
		.amdhsa_reserve_flat_scratch 0
		.amdhsa_float_round_mode_32 0
		.amdhsa_float_round_mode_16_64 0
		.amdhsa_float_denorm_mode_32 3
		.amdhsa_float_denorm_mode_16_64 3
		.amdhsa_dx10_clamp 1
		.amdhsa_ieee_mode 1
		.amdhsa_fp16_overflow 0
		.amdhsa_workgroup_processor_mode 1
		.amdhsa_memory_ordered 1
		.amdhsa_forward_progress 0
		.amdhsa_shared_vgpr_count 0
		.amdhsa_exception_fp_ieee_invalid_op 0
		.amdhsa_exception_fp_denorm_src 0
		.amdhsa_exception_fp_ieee_div_zero 0
		.amdhsa_exception_fp_ieee_overflow 0
		.amdhsa_exception_fp_ieee_underflow 0
		.amdhsa_exception_fp_ieee_inexact 0
		.amdhsa_exception_int_div_zero 0
	.end_amdhsa_kernel
	.text
.Lfunc_end0:
	.size	bluestein_single_back_len1008_dim1_half_op_CI_CI, .Lfunc_end0-bluestein_single_back_len1008_dim1_half_op_CI_CI
                                        ; -- End function
	.section	.AMDGPU.csdata,"",@progbits
; Kernel info:
; codeLenInByte = 30108
; NumSgprs: 22
; NumVgprs: 194
; ScratchSize: 0
; MemoryBound: 0
; FloatMode: 240
; IeeeMode: 1
; LDSByteSize: 4032 bytes/workgroup (compile time only)
; SGPRBlocks: 2
; VGPRBlocks: 24
; NumSGPRsForWavesPerEU: 22
; NumVGPRsForWavesPerEU: 194
; Occupancy: 4
; WaveLimiterHint : 1
; COMPUTE_PGM_RSRC2:SCRATCH_EN: 0
; COMPUTE_PGM_RSRC2:USER_SGPR: 6
; COMPUTE_PGM_RSRC2:TRAP_HANDLER: 0
; COMPUTE_PGM_RSRC2:TGID_X_EN: 1
; COMPUTE_PGM_RSRC2:TGID_Y_EN: 0
; COMPUTE_PGM_RSRC2:TGID_Z_EN: 0
; COMPUTE_PGM_RSRC2:TIDIG_COMP_CNT: 0
	.text
	.p2alignl 6, 3214868480
	.fill 48, 4, 3214868480
	.type	__hip_cuid_a36d894f69a0b74c,@object ; @__hip_cuid_a36d894f69a0b74c
	.section	.bss,"aw",@nobits
	.globl	__hip_cuid_a36d894f69a0b74c
__hip_cuid_a36d894f69a0b74c:
	.byte	0                               ; 0x0
	.size	__hip_cuid_a36d894f69a0b74c, 1

	.ident	"AMD clang version 19.0.0git (https://github.com/RadeonOpenCompute/llvm-project roc-6.4.0 25133 c7fe45cf4b819c5991fe208aaa96edf142730f1d)"
	.section	".note.GNU-stack","",@progbits
	.addrsig
	.addrsig_sym __hip_cuid_a36d894f69a0b74c
	.amdgpu_metadata
---
amdhsa.kernels:
  - .args:
      - .actual_access:  read_only
        .address_space:  global
        .offset:         0
        .size:           8
        .value_kind:     global_buffer
      - .actual_access:  read_only
        .address_space:  global
        .offset:         8
        .size:           8
        .value_kind:     global_buffer
      - .actual_access:  read_only
        .address_space:  global
        .offset:         16
        .size:           8
        .value_kind:     global_buffer
      - .actual_access:  read_only
        .address_space:  global
        .offset:         24
        .size:           8
        .value_kind:     global_buffer
      - .actual_access:  read_only
        .address_space:  global
        .offset:         32
        .size:           8
        .value_kind:     global_buffer
      - .offset:         40
        .size:           8
        .value_kind:     by_value
      - .address_space:  global
        .offset:         48
        .size:           8
        .value_kind:     global_buffer
      - .address_space:  global
        .offset:         56
        .size:           8
        .value_kind:     global_buffer
      - .address_space:  global
        .offset:         64
        .size:           8
        .value_kind:     global_buffer
      - .address_space:  global
        .offset:         72
        .size:           8
        .value_kind:     global_buffer
      - .offset:         80
        .size:           4
        .value_kind:     by_value
      - .address_space:  global
        .offset:         88
        .size:           8
        .value_kind:     global_buffer
      - .address_space:  global
        .offset:         96
        .size:           8
        .value_kind:     global_buffer
    .group_segment_fixed_size: 4032
    .kernarg_segment_align: 8
    .kernarg_segment_size: 104
    .language:       OpenCL C
    .language_version:
      - 2
      - 0
    .max_flat_workgroup_size: 56
    .name:           bluestein_single_back_len1008_dim1_half_op_CI_CI
    .private_segment_fixed_size: 0
    .sgpr_count:     22
    .sgpr_spill_count: 0
    .symbol:         bluestein_single_back_len1008_dim1_half_op_CI_CI.kd
    .uniform_work_group_size: 1
    .uses_dynamic_stack: false
    .vgpr_count:     194
    .vgpr_spill_count: 0
    .wavefront_size: 32
    .workgroup_processor_mode: 1
amdhsa.target:   amdgcn-amd-amdhsa--gfx1030
amdhsa.version:
  - 1
  - 2
...

	.end_amdgpu_metadata
